;; amdgpu-corpus repo=ROCm/rocFFT kind=compiled arch=gfx906 opt=O3
	.text
	.amdgcn_target "amdgcn-amd-amdhsa--gfx906"
	.amdhsa_code_object_version 6
	.protected	fft_rtc_fwd_len1156_factors_17_2_17_2_wgs_204_tpt_68_halfLds_dp_ip_CI_unitstride_sbrr_R2C_dirReg ; -- Begin function fft_rtc_fwd_len1156_factors_17_2_17_2_wgs_204_tpt_68_halfLds_dp_ip_CI_unitstride_sbrr_R2C_dirReg
	.globl	fft_rtc_fwd_len1156_factors_17_2_17_2_wgs_204_tpt_68_halfLds_dp_ip_CI_unitstride_sbrr_R2C_dirReg
	.p2align	8
	.type	fft_rtc_fwd_len1156_factors_17_2_17_2_wgs_204_tpt_68_halfLds_dp_ip_CI_unitstride_sbrr_R2C_dirReg,@function
fft_rtc_fwd_len1156_factors_17_2_17_2_wgs_204_tpt_68_halfLds_dp_ip_CI_unitstride_sbrr_R2C_dirReg: ; @fft_rtc_fwd_len1156_factors_17_2_17_2_wgs_204_tpt_68_halfLds_dp_ip_CI_unitstride_sbrr_R2C_dirReg
; %bb.0:
	s_load_dwordx2 s[12:13], s[4:5], 0x50
	s_load_dwordx4 s[8:11], s[4:5], 0x0
	s_load_dwordx2 s[2:3], s[4:5], 0x18
	v_mul_u32_u24_e32 v1, 0x3c4, v0
	v_lshrrev_b32_e32 v1, 16, v1
	v_mad_u64_u32 v[1:2], s[0:1], s6, 3, v[1:2]
	v_mov_b32_e32 v5, 0
	s_waitcnt lgkmcnt(0)
	v_cmp_lt_u64_e64 s[0:1], s[10:11], 2
	v_mov_b32_e32 v2, v5
	v_mov_b32_e32 v3, 0
	;; [unrolled: 1-line block ×3, first 2 shown]
	s_and_b64 vcc, exec, s[0:1]
	v_mov_b32_e32 v4, 0
	v_mov_b32_e32 v9, v1
	s_cbranch_vccnz .LBB0_8
; %bb.1:
	s_load_dwordx2 s[0:1], s[4:5], 0x10
	s_add_u32 s6, s2, 8
	s_addc_u32 s7, s3, 0
	v_mov_b32_e32 v3, 0
	v_mov_b32_e32 v8, v2
	s_waitcnt lgkmcnt(0)
	s_add_u32 s16, s0, 8
	s_mov_b64 s[14:15], 1
	v_mov_b32_e32 v4, 0
	s_addc_u32 s17, s1, 0
	v_mov_b32_e32 v7, v1
.LBB0_2:                                ; =>This Inner Loop Header: Depth=1
	s_load_dwordx2 s[18:19], s[16:17], 0x0
                                        ; implicit-def: $vgpr9_vgpr10
	s_waitcnt lgkmcnt(0)
	v_or_b32_e32 v6, s19, v8
	v_cmp_ne_u64_e32 vcc, 0, v[5:6]
	s_and_saveexec_b64 s[0:1], vcc
	s_xor_b64 s[20:21], exec, s[0:1]
	s_cbranch_execz .LBB0_4
; %bb.3:                                ;   in Loop: Header=BB0_2 Depth=1
	v_cvt_f32_u32_e32 v2, s18
	v_cvt_f32_u32_e32 v6, s19
	s_sub_u32 s0, 0, s18
	s_subb_u32 s1, 0, s19
	v_mac_f32_e32 v2, 0x4f800000, v6
	v_rcp_f32_e32 v2, v2
	v_mul_f32_e32 v2, 0x5f7ffffc, v2
	v_mul_f32_e32 v6, 0x2f800000, v2
	v_trunc_f32_e32 v6, v6
	v_mac_f32_e32 v2, 0xcf800000, v6
	v_cvt_u32_f32_e32 v6, v6
	v_cvt_u32_f32_e32 v2, v2
	v_mul_lo_u32 v9, s0, v6
	v_mul_hi_u32 v10, s0, v2
	v_mul_lo_u32 v12, s1, v2
	v_mul_lo_u32 v11, s0, v2
	v_add_u32_e32 v9, v10, v9
	v_add_u32_e32 v9, v9, v12
	v_mul_hi_u32 v10, v2, v11
	v_mul_lo_u32 v12, v2, v9
	v_mul_hi_u32 v14, v2, v9
	v_mul_hi_u32 v13, v6, v11
	v_mul_lo_u32 v11, v6, v11
	v_mul_hi_u32 v15, v6, v9
	v_add_co_u32_e32 v10, vcc, v10, v12
	v_addc_co_u32_e32 v12, vcc, 0, v14, vcc
	v_mul_lo_u32 v9, v6, v9
	v_add_co_u32_e32 v10, vcc, v10, v11
	v_addc_co_u32_e32 v10, vcc, v12, v13, vcc
	v_addc_co_u32_e32 v11, vcc, 0, v15, vcc
	v_add_co_u32_e32 v9, vcc, v10, v9
	v_addc_co_u32_e32 v10, vcc, 0, v11, vcc
	v_add_co_u32_e32 v2, vcc, v2, v9
	v_addc_co_u32_e32 v6, vcc, v6, v10, vcc
	v_mul_lo_u32 v9, s0, v6
	v_mul_hi_u32 v10, s0, v2
	v_mul_lo_u32 v11, s1, v2
	v_mul_lo_u32 v12, s0, v2
	v_add_u32_e32 v9, v10, v9
	v_add_u32_e32 v9, v9, v11
	v_mul_lo_u32 v13, v2, v9
	v_mul_hi_u32 v14, v2, v12
	v_mul_hi_u32 v15, v2, v9
	;; [unrolled: 1-line block ×3, first 2 shown]
	v_mul_lo_u32 v12, v6, v12
	v_mul_hi_u32 v10, v6, v9
	v_add_co_u32_e32 v13, vcc, v14, v13
	v_addc_co_u32_e32 v14, vcc, 0, v15, vcc
	v_mul_lo_u32 v9, v6, v9
	v_add_co_u32_e32 v12, vcc, v13, v12
	v_addc_co_u32_e32 v11, vcc, v14, v11, vcc
	v_addc_co_u32_e32 v10, vcc, 0, v10, vcc
	v_add_co_u32_e32 v9, vcc, v11, v9
	v_addc_co_u32_e32 v10, vcc, 0, v10, vcc
	v_add_co_u32_e32 v2, vcc, v2, v9
	v_addc_co_u32_e32 v6, vcc, v6, v10, vcc
	v_mad_u64_u32 v[9:10], s[0:1], v7, v6, 0
	v_mul_hi_u32 v11, v7, v2
	v_add_co_u32_e32 v13, vcc, v11, v9
	v_addc_co_u32_e32 v14, vcc, 0, v10, vcc
	v_mad_u64_u32 v[9:10], s[0:1], v8, v2, 0
	v_mad_u64_u32 v[11:12], s[0:1], v8, v6, 0
	v_add_co_u32_e32 v2, vcc, v13, v9
	v_addc_co_u32_e32 v2, vcc, v14, v10, vcc
	v_addc_co_u32_e32 v6, vcc, 0, v12, vcc
	v_add_co_u32_e32 v2, vcc, v2, v11
	v_addc_co_u32_e32 v6, vcc, 0, v6, vcc
	v_mul_lo_u32 v11, s19, v2
	v_mul_lo_u32 v12, s18, v6
	v_mad_u64_u32 v[9:10], s[0:1], s18, v2, 0
	v_add3_u32 v10, v10, v12, v11
	v_sub_u32_e32 v11, v8, v10
	v_mov_b32_e32 v12, s19
	v_sub_co_u32_e32 v9, vcc, v7, v9
	v_subb_co_u32_e64 v11, s[0:1], v11, v12, vcc
	v_subrev_co_u32_e64 v12, s[0:1], s18, v9
	v_subbrev_co_u32_e64 v11, s[0:1], 0, v11, s[0:1]
	v_cmp_le_u32_e64 s[0:1], s19, v11
	v_cndmask_b32_e64 v13, 0, -1, s[0:1]
	v_cmp_le_u32_e64 s[0:1], s18, v12
	v_cndmask_b32_e64 v12, 0, -1, s[0:1]
	v_cmp_eq_u32_e64 s[0:1], s19, v11
	v_cndmask_b32_e64 v11, v13, v12, s[0:1]
	v_add_co_u32_e64 v12, s[0:1], 2, v2
	v_addc_co_u32_e64 v13, s[0:1], 0, v6, s[0:1]
	v_add_co_u32_e64 v14, s[0:1], 1, v2
	v_addc_co_u32_e64 v15, s[0:1], 0, v6, s[0:1]
	v_subb_co_u32_e32 v10, vcc, v8, v10, vcc
	v_cmp_ne_u32_e64 s[0:1], 0, v11
	v_cmp_le_u32_e32 vcc, s19, v10
	v_cndmask_b32_e64 v11, v15, v13, s[0:1]
	v_cndmask_b32_e64 v13, 0, -1, vcc
	v_cmp_le_u32_e32 vcc, s18, v9
	v_cndmask_b32_e64 v9, 0, -1, vcc
	v_cmp_eq_u32_e32 vcc, s19, v10
	v_cndmask_b32_e32 v9, v13, v9, vcc
	v_cmp_ne_u32_e32 vcc, 0, v9
	v_cndmask_b32_e32 v10, v6, v11, vcc
	v_cndmask_b32_e64 v6, v14, v12, s[0:1]
	v_cndmask_b32_e32 v9, v2, v6, vcc
.LBB0_4:                                ;   in Loop: Header=BB0_2 Depth=1
	s_andn2_saveexec_b64 s[0:1], s[20:21]
	s_cbranch_execz .LBB0_6
; %bb.5:                                ;   in Loop: Header=BB0_2 Depth=1
	v_cvt_f32_u32_e32 v2, s18
	s_sub_i32 s20, 0, s18
	v_rcp_iflag_f32_e32 v2, v2
	v_mul_f32_e32 v2, 0x4f7ffffe, v2
	v_cvt_u32_f32_e32 v2, v2
	v_mul_lo_u32 v6, s20, v2
	v_mul_hi_u32 v6, v2, v6
	v_add_u32_e32 v2, v2, v6
	v_mul_hi_u32 v2, v7, v2
	v_mul_lo_u32 v6, v2, s18
	v_add_u32_e32 v9, 1, v2
	v_sub_u32_e32 v6, v7, v6
	v_subrev_u32_e32 v10, s18, v6
	v_cmp_le_u32_e32 vcc, s18, v6
	v_cndmask_b32_e32 v6, v6, v10, vcc
	v_cndmask_b32_e32 v2, v2, v9, vcc
	v_add_u32_e32 v9, 1, v2
	v_cmp_le_u32_e32 vcc, s18, v6
	v_cndmask_b32_e32 v9, v2, v9, vcc
	v_mov_b32_e32 v10, v5
.LBB0_6:                                ;   in Loop: Header=BB0_2 Depth=1
	s_or_b64 exec, exec, s[0:1]
	v_mul_lo_u32 v2, v10, s18
	v_mul_lo_u32 v6, v9, s19
	v_mad_u64_u32 v[11:12], s[0:1], v9, s18, 0
	s_load_dwordx2 s[0:1], s[6:7], 0x0
	s_add_u32 s14, s14, 1
	v_add3_u32 v2, v12, v6, v2
	v_sub_co_u32_e32 v6, vcc, v7, v11
	v_subb_co_u32_e32 v2, vcc, v8, v2, vcc
	s_waitcnt lgkmcnt(0)
	v_mul_lo_u32 v2, s0, v2
	v_mul_lo_u32 v7, s1, v6
	v_mad_u64_u32 v[3:4], s[0:1], s0, v6, v[3:4]
	s_addc_u32 s15, s15, 0
	s_add_u32 s6, s6, 8
	v_add3_u32 v4, v7, v4, v2
	v_mov_b32_e32 v6, s10
	v_mov_b32_e32 v7, s11
	s_addc_u32 s7, s7, 0
	v_cmp_ge_u64_e32 vcc, s[14:15], v[6:7]
	s_add_u32 s16, s16, 8
	s_addc_u32 s17, s17, 0
	s_cbranch_vccnz .LBB0_8
; %bb.7:                                ;   in Loop: Header=BB0_2 Depth=1
	v_mov_b32_e32 v7, v9
	v_mov_b32_e32 v8, v10
	s_branch .LBB0_2
.LBB0_8:
	s_lshl_b64 s[0:1], s[10:11], 3
	s_add_u32 s0, s2, s0
	s_addc_u32 s1, s3, s1
	s_load_dwordx2 s[0:1], s[0:1], 0x0
	s_mov_b32 s2, 0xaaaaaaab
	v_mul_hi_u32 v5, v1, s2
	s_load_dwordx2 s[2:3], s[4:5], 0x20
                                        ; implicit-def: $vgpr83
                                        ; implicit-def: $vgpr82
                                        ; implicit-def: $vgpr81
                                        ; implicit-def: $vgpr80
                                        ; implicit-def: $vgpr79
                                        ; implicit-def: $vgpr78
                                        ; implicit-def: $vgpr77
                                        ; implicit-def: $vgpr76
	s_waitcnt lgkmcnt(0)
	v_mul_lo_u32 v6, s0, v10
	v_mul_lo_u32 v7, s1, v9
	v_mad_u64_u32 v[2:3], s[0:1], s0, v9, v[3:4]
	s_mov_b32 s0, 0x3c3c3c4
	v_lshrrev_b32_e32 v4, 1, v5
	v_mul_hi_u32 v5, v0, s0
	v_lshl_add_u32 v4, v4, 1, v4
	v_sub_u32_e32 v1, v1, v4
	v_cmp_gt_u64_e64 s[0:1], s[2:3], v[9:10]
	v_cmp_le_u64_e32 vcc, s[2:3], v[9:10]
	v_mul_u32_u24_e32 v4, 0x44, v5
	v_add3_u32 v3, v7, v3, v6
	v_sub_u32_e32 v72, v0, v4
	s_and_saveexec_b64 s[2:3], vcc
	s_xor_b64 s[2:3], exec, s[2:3]
; %bb.9:
	v_add_u32_e32 v83, 0x44, v72
	v_add_u32_e32 v82, 0x88, v72
	;; [unrolled: 1-line block ×8, first 2 shown]
; %bb.10:
	s_or_saveexec_b64 s[2:3], s[2:3]
	v_mul_u32_u24_e32 v0, 0x485, v1
	v_lshlrev_b64 v[74:75], 4, v[2:3]
	v_lshlrev_b32_e32 v136, 4, v0
	v_lshlrev_b32_e32 v134, 4, v72
	s_xor_b64 exec, exec, s[2:3]
	s_cbranch_execz .LBB0_12
; %bb.11:
	v_mov_b32_e32 v73, 0
	v_mov_b32_e32 v0, s13
	v_add_co_u32_e32 v2, vcc, s12, v74
	v_addc_co_u32_e32 v3, vcc, v0, v75, vcc
	v_lshlrev_b64 v[0:1], 4, v[72:73]
	s_movk_i32 s4, 0x1000
	v_add_co_u32_e32 v63, vcc, v2, v0
	v_addc_co_u32_e32 v64, vcc, v3, v1, vcc
	v_add_co_u32_e32 v32, vcc, s4, v63
	v_addc_co_u32_e32 v33, vcc, 0, v64, vcc
	s_movk_i32 s4, 0x2000
	v_add_co_u32_e32 v48, vcc, s4, v63
	v_addc_co_u32_e32 v49, vcc, 0, v64, vcc
	s_movk_i32 s4, 0x3000
	v_add_co_u32_e32 v65, vcc, s4, v63
	v_addc_co_u32_e32 v66, vcc, 0, v64, vcc
	global_load_dwordx4 v[0:3], v[63:64], off
	global_load_dwordx4 v[4:7], v[63:64], off offset:1088
	global_load_dwordx4 v[8:11], v[63:64], off offset:2176
	;; [unrolled: 1-line block ×7, first 2 shown]
	s_nop 0
	global_load_dwordx4 v[32:35], v[48:49], off offset:512
	global_load_dwordx4 v[36:39], v[48:49], off offset:1600
	;; [unrolled: 1-line block ×4, first 2 shown]
	s_nop 0
	global_load_dwordx4 v[48:51], v[65:66], off offset:768
	global_load_dwordx4 v[52:55], v[65:66], off offset:1856
	v_add_co_u32_e32 v67, vcc, 0x4000, v63
	global_load_dwordx4 v[56:59], v[65:66], off offset:2944
	global_load_dwordx4 v[60:63], v[65:66], off offset:4032
	v_addc_co_u32_e32 v68, vcc, 0, v64, vcc
	global_load_dwordx4 v[64:67], v[67:68], off offset:1024
	v_add3_u32 v68, 0, v136, v134
	v_add_u32_e32 v83, 0x44, v72
	v_add_u32_e32 v82, 0x88, v72
	;; [unrolled: 1-line block ×8, first 2 shown]
	s_waitcnt vmcnt(16)
	ds_write_b128 v68, v[0:3]
	s_waitcnt vmcnt(15)
	ds_write_b128 v68, v[4:7] offset:1088
	s_waitcnt vmcnt(14)
	ds_write_b128 v68, v[8:11] offset:2176
	;; [unrolled: 2-line block ×16, first 2 shown]
.LBB0_12:
	s_or_b64 exec, exec, s[2:3]
	v_add_u32_e32 v133, 0, v136
	v_add_u32_e32 v132, v133, v134
	s_waitcnt lgkmcnt(0)
	s_barrier
	v_add3_u32 v135, 0, v134, v136
	ds_read_b128 v[0:3], v132
	ds_read_b128 v[4:7], v135 offset:1088
	ds_read_b128 v[8:11], v135 offset:2176
	;; [unrolled: 1-line block ×3, first 2 shown]
	s_mov_b32 s24, 0x5d8e7cdc
	s_mov_b32 s34, 0x2a9d6da3
	s_waitcnt lgkmcnt(2)
	v_add_f64 v[12:13], v[0:1], v[4:5]
	v_add_f64 v[14:15], v[2:3], v[6:7]
	s_mov_b32 s40, 0x7c9e640b
	s_mov_b32 s28, 0xeb564b22
	;; [unrolled: 1-line block ×6, first 2 shown]
	s_waitcnt lgkmcnt(1)
	v_add_f64 v[12:13], v[12:13], v[8:9]
	v_add_f64 v[14:15], v[14:15], v[10:11]
	s_mov_b32 s25, 0xbfd71e95
	s_mov_b32 s35, 0xbfe58eea
	ds_read_b128 v[20:23], v135 offset:5440
	s_mov_b32 s41, 0xbfeca52d
	s_mov_b32 s29, 0xbfefdd0d
	;; [unrolled: 1-line block ×3, first 2 shown]
	s_waitcnt lgkmcnt(1)
	v_add_f64 v[24:25], v[12:13], v[16:17]
	v_add_f64 v[26:27], v[14:15], v[18:19]
	ds_read_b128 v[12:15], v135 offset:4352
	s_mov_b32 s19, 0xbfe9895b
	s_mov_b32 s23, 0xbfe0d888
	;; [unrolled: 1-line block ×5, first 2 shown]
	s_waitcnt lgkmcnt(0)
	v_add_f64 v[24:25], v[24:25], v[12:13]
	v_add_f64 v[26:27], v[26:27], v[14:15]
	s_mov_b32 s6, 0x2b2883cd
	s_mov_b32 s2, 0x3259b75e
	ds_read_b128 v[28:31], v135 offset:7616
	s_mov_b32 s4, 0xc61f0d01
	s_mov_b32 s16, 0x6ed5f1bb
	;; [unrolled: 1-line block ×3, first 2 shown]
	v_add_f64 v[32:33], v[24:25], v[20:21]
	v_add_f64 v[34:35], v[26:27], v[22:23]
	ds_read_b128 v[24:27], v135 offset:6528
	s_mov_b32 s30, 0x7faef3
	s_mov_b32 s21, 0x3fedd6d0
	s_mov_b32 s15, 0x3fe7a5f6
	s_mov_b32 s7, 0x3fdc86fa
	s_mov_b32 s3, 0x3fb79ee6
	s_waitcnt lgkmcnt(0)
	v_add_f64 v[36:37], v[32:33], v[24:25]
	v_add_f64 v[38:39], v[34:35], v[26:27]
	ds_read_b128 v[32:35], v135 offset:8704
	ds_read_b128 v[48:51], v135 offset:9792
	;; [unrolled: 1-line block ×8, first 2 shown]
	s_waitcnt lgkmcnt(4)
	v_add_f64 v[54:55], v[24:25], v[84:85]
	v_add_f64 v[56:57], v[24:25], -v[84:85]
	v_add_f64 v[42:43], v[28:29], v[58:59]
	v_add_f64 v[40:41], v[32:33], -v[48:49]
	v_add_f64 v[36:37], v[36:37], v[28:29]
	v_add_f64 v[38:39], v[38:39], v[30:31]
	v_add_f64 v[46:47], v[34:35], -v[50:51]
	s_waitcnt lgkmcnt(3)
	v_add_f64 v[62:63], v[20:21], v[92:93]
	v_add_f64 v[64:65], v[20:21], -v[92:93]
	v_add_f64 v[70:71], v[22:23], -v[94:95]
	s_waitcnt lgkmcnt(2)
	v_add_f64 v[68:69], v[12:13], v[104:105]
	v_add_f64 v[66:67], v[14:15], v[106:107]
	;; [unrolled: 1-line block ×6, first 2 shown]
	v_add_f64 v[90:91], v[14:15], -v[106:107]
	s_waitcnt lgkmcnt(0)
	v_add_f64 v[100:101], v[8:9], -v[112:113]
	ds_read_b128 v[116:119], v135 offset:17408
	v_add_f64 v[88:89], v[16:17], v[108:109]
	v_add_f64 v[32:33], v[44:45], v[48:49]
	v_add_f64 v[34:35], v[52:53], v[50:51]
	v_add_f64 v[48:49], v[28:29], -v[58:59]
	v_add_f64 v[44:45], v[30:31], v[60:61]
	v_add_f64 v[50:51], v[30:31], -v[60:61]
	v_add_f64 v[52:53], v[26:27], v[86:87]
	v_add_f64 v[96:97], v[16:17], -v[108:109]
	s_waitcnt lgkmcnt(0)
	v_add_f64 v[16:17], v[6:7], -v[118:119]
	v_add_f64 v[24:25], v[32:33], v[58:59]
	v_add_f64 v[28:29], v[34:35], v[60:61]
	v_add_f64 v[58:59], v[26:27], -v[86:87]
	v_add_f64 v[60:61], v[22:23], v[94:95]
	v_add_f64 v[102:103], v[10:11], -v[114:115]
	v_add_f64 v[98:99], v[18:19], -v[110:111]
	v_add_f64 v[6:7], v[6:7], v[118:119]
	v_mul_f64 v[26:27], v[16:17], s[18:19]
	v_add_f64 v[20:21], v[24:25], v[84:85]
	v_add_f64 v[22:23], v[28:29], v[86:87]
	v_add_f64 v[86:87], v[12:13], -v[104:105]
	v_add_f64 v[84:85], v[18:19], v[110:111]
	v_mul_f64 v[18:19], v[16:17], s[34:35]
	v_mul_f64 v[24:25], v[16:17], s[10:11]
	s_mov_b32 s5, 0xbfd183b1
	s_mov_b32 s17, 0xbfe348c8
	v_add_f64 v[12:13], v[20:21], v[92:93]
	v_add_f64 v[14:15], v[22:23], v[94:95]
	;; [unrolled: 1-line block ×4, first 2 shown]
	v_mul_f64 v[20:21], v[16:17], s[40:41]
	v_mul_f64 v[22:23], v[16:17], s[28:29]
	s_mov_b32 s27, 0xbfeb34fa
	s_mov_b32 s31, 0xbfef7484
	v_add_f64 v[8:9], v[12:13], v[104:105]
	v_add_f64 v[10:11], v[14:15], v[106:107]
	;; [unrolled: 1-line block ×3, first 2 shown]
	v_add_f64 v[4:5], v[4:5], -v[116:117]
	v_mul_f64 v[14:15], v[16:17], s[24:25]
	v_mul_f64 v[106:107], v[16:17], s[22:23]
	;; [unrolled: 1-line block ×4, first 2 shown]
	v_add_f64 v[8:9], v[8:9], v[108:109]
	v_add_f64 v[10:11], v[10:11], v[110:111]
	v_fma_f64 v[30:31], v[12:13], s[14:15], -v[18:19]
	v_fma_f64 v[18:19], v[12:13], s[14:15], v[18:19]
	v_fma_f64 v[28:29], v[12:13], s[20:21], -v[14:15]
	v_fma_f64 v[14:15], v[12:13], s[20:21], v[14:15]
	;; [unrolled: 2-line block ×3, first 2 shown]
	v_add_f64 v[8:9], v[8:9], v[112:113]
	v_mul_f64 v[112:113], v[4:5], s[24:25]
	v_add_f64 v[10:11], v[10:11], v[114:115]
	v_fma_f64 v[34:35], v[12:13], s[2:3], -v[22:23]
	v_fma_f64 v[22:23], v[12:13], s[2:3], v[22:23]
	v_fma_f64 v[104:105], v[12:13], s[4:5], -v[24:25]
	v_fma_f64 v[24:25], v[12:13], s[4:5], v[24:25]
	v_fma_f64 v[108:109], v[12:13], s[16:17], -v[26:27]
	v_add_f64 v[8:9], v[8:9], v[116:117]
	v_fma_f64 v[26:27], v[12:13], s[16:17], v[26:27]
	v_fma_f64 v[110:111], v[12:13], s[26:27], -v[106:107]
	v_fma_f64 v[106:107], v[12:13], s[26:27], v[106:107]
	v_mul_f64 v[114:115], v[4:5], s[34:35]
	v_fma_f64 v[137:138], v[12:13], s[30:31], -v[16:17]
	v_mul_f64 v[116:117], v[4:5], s[40:41]
	v_fma_f64 v[12:13], v[12:13], s[30:31], v[16:17]
	v_fma_f64 v[16:17], v[6:7], s[20:21], v[112:113]
	v_fma_f64 v[112:113], v[6:7], s[20:21], -v[112:113]
	v_mul_f64 v[120:121], v[4:5], s[28:29]
	v_mul_f64 v[122:123], v[4:5], s[10:11]
	;; [unrolled: 1-line block ×6, first 2 shown]
	v_add_f64 v[10:11], v[10:11], v[118:119]
	v_fma_f64 v[118:119], v[6:7], s[14:15], v[114:115]
	v_fma_f64 v[114:115], v[6:7], s[14:15], -v[114:115]
	v_fma_f64 v[124:125], v[6:7], s[6:7], v[116:117]
	v_fma_f64 v[116:117], v[6:7], s[6:7], -v[116:117]
	;; [unrolled: 2-line block ×7, first 2 shown]
	v_add_f64 v[6:7], v[0:1], v[28:29]
	v_add_f64 v[16:17], v[2:3], v[16:17]
	;; [unrolled: 1-line block ×4, first 2 shown]
	v_fma_f64 v[32:33], v[94:95], s[14:15], -v[151:152]
	v_fma_f64 v[112:113], v[92:93], s[14:15], v[153:154]
	v_mul_f64 v[163:164], v[98:99], s[40:41]
	v_mul_f64 v[165:166], v[96:97], s[40:41]
	v_add_f64 v[157:158], v[2:3], v[114:115]
	v_mul_f64 v[173:174], v[90:91], s[28:29]
	v_mul_f64 v[175:176], v[86:87], s[28:29]
	v_add_f64 v[169:170], v[0:1], v[34:35]
	v_add_f64 v[6:7], v[32:33], v[6:7]
	;; [unrolled: 1-line block ×3, first 2 shown]
	v_fma_f64 v[112:113], v[88:89], s[6:7], -v[163:164]
	v_fma_f64 v[114:115], v[84:85], s[6:7], v[165:166]
	v_add_f64 v[177:178], v[0:1], v[22:23]
	v_add_f64 v[32:33], v[0:1], v[104:105]
	;; [unrolled: 1-line block ×3, first 2 shown]
	v_fma_f64 v[22:23], v[68:69], s[2:3], -v[173:174]
	v_fma_f64 v[104:105], v[66:67], s[2:3], v[175:176]
	v_mul_f64 v[139:140], v[70:71], s[10:11]
	v_add_f64 v[6:7], v[112:113], v[6:7]
	v_add_f64 v[16:17], v[114:115], v[16:17]
	v_mul_f64 v[181:182], v[64:65], s[10:11]
	v_add_f64 v[128:129], v[0:1], v[24:25]
	v_add_f64 v[126:127], v[2:3], v[141:142]
	v_mul_f64 v[141:142], v[58:59], s[18:19]
	v_mul_f64 v[183:184], v[56:57], s[18:19]
	v_add_f64 v[171:172], v[2:3], v[130:131]
	v_add_f64 v[6:7], v[22:23], v[6:7]
	;; [unrolled: 1-line block ×3, first 2 shown]
	v_fma_f64 v[22:23], v[62:63], s[4:5], -v[139:140]
	v_fma_f64 v[24:25], v[60:61], s[4:5], v[181:182]
	v_add_f64 v[179:180], v[2:3], v[120:121]
	v_add_f64 v[130:131], v[2:3], v[122:123]
	v_add_f64 v[120:121], v[0:1], v[26:27]
	v_add_f64 v[122:123], v[2:3], v[143:144]
	v_mul_f64 v[26:27], v[50:51], s[22:23]
	v_mul_f64 v[143:144], v[48:49], s[22:23]
	v_add_f64 v[6:7], v[22:23], v[6:7]
	v_add_f64 v[16:17], v[24:25], v[16:17]
	v_fma_f64 v[22:23], v[54:55], s[16:17], -v[141:142]
	v_fma_f64 v[24:25], v[52:53], s[16:17], v[183:184]
	v_add_f64 v[155:156], v[2:3], v[118:119]
	v_add_f64 v[118:119], v[2:3], v[145:146]
	;; [unrolled: 1-line block ×4, first 2 shown]
	v_mul_f64 v[137:138], v[46:47], s[36:37]
	v_mul_f64 v[145:146], v[40:41], s[36:37]
	v_add_f64 v[6:7], v[22:23], v[6:7]
	v_add_f64 v[16:17], v[24:25], v[16:17]
	v_fma_f64 v[22:23], v[42:43], s[26:27], -v[26:27]
	v_fma_f64 v[24:25], v[44:45], s[26:27], v[143:144]
	v_add_f64 v[14:15], v[0:1], v[14:15]
	v_add_f64 v[30:31], v[0:1], v[30:31]
	;; [unrolled: 1-line block ×12, first 2 shown]
	v_fma_f64 v[0:1], v[94:95], s[14:15], v[151:152]
	v_fma_f64 v[2:3], v[92:93], s[14:15], -v[153:154]
	v_add_f64 v[4:5], v[22:23], v[6:7]
	v_add_f64 v[6:7], v[24:25], v[16:17]
	v_fma_f64 v[12:13], v[38:39], s[30:31], -v[137:138]
	v_fma_f64 v[16:17], v[36:37], s[30:31], v[145:146]
	v_mul_f64 v[22:23], v[102:103], s[28:29]
	v_mul_f64 v[24:25], v[100:101], s[28:29]
	v_add_f64 v[14:15], v[0:1], v[14:15]
	v_add_f64 v[28:29], v[2:3], v[28:29]
	v_fma_f64 v[147:148], v[88:89], s[6:7], v[163:164]
	v_fma_f64 v[149:150], v[84:85], s[6:7], -v[165:166]
	v_add_f64 v[0:1], v[12:13], v[4:5]
	v_add_f64 v[2:3], v[16:17], v[6:7]
	v_fma_f64 v[4:5], v[94:95], s[2:3], -v[22:23]
	v_fma_f64 v[6:7], v[92:93], s[2:3], v[24:25]
	v_mul_f64 v[12:13], v[98:99], s[18:19]
	v_mul_f64 v[16:17], v[96:97], s[18:19]
	v_add_f64 v[14:15], v[147:148], v[14:15]
	v_add_f64 v[28:29], v[149:150], v[28:29]
	v_fma_f64 v[147:148], v[68:69], s[2:3], v[173:174]
	v_fma_f64 v[149:150], v[66:67], s[2:3], -v[175:176]
	v_add_f64 v[4:5], v[4:5], v[30:31]
	v_add_f64 v[6:7], v[6:7], v[155:156]
	v_fma_f64 v[30:31], v[88:89], s[16:17], -v[12:13]
	v_fma_f64 v[151:152], v[84:85], s[16:17], v[16:17]
	v_mul_f64 v[153:154], v[90:91], s[36:37]
	v_mul_f64 v[155:156], v[86:87], s[36:37]
	s_mov_b32 s49, 0x3fe0d888
	s_mov_b32 s48, s22
	v_add_f64 v[14:15], v[147:148], v[14:15]
	v_add_f64 v[28:29], v[149:150], v[28:29]
	v_fma_f64 v[139:140], v[62:63], s[4:5], v[139:140]
	v_fma_f64 v[147:148], v[60:61], s[4:5], -v[181:182]
	v_add_f64 v[4:5], v[30:31], v[4:5]
	v_add_f64 v[6:7], v[151:152], v[6:7]
	v_fma_f64 v[30:31], v[68:69], s[30:31], -v[153:154]
	v_fma_f64 v[149:150], v[66:67], s[30:31], v[155:156]
	v_mul_f64 v[151:152], v[70:71], s[48:49]
	v_mul_f64 v[163:164], v[64:65], s[48:49]
	s_mov_b32 s47, 0x3feec746
	s_mov_b32 s46, s10
	;; [unrolled: 12-line block ×3, first 2 shown]
	v_add_f64 v[14:15], v[139:140], v[14:15]
	v_add_f64 v[28:29], v[141:142], v[28:29]
	v_fma_f64 v[26:27], v[42:43], s[26:27], v[26:27]
	v_fma_f64 v[139:140], v[44:45], s[26:27], -v[143:144]
	v_add_f64 v[4:5], v[30:31], v[4:5]
	v_add_f64 v[6:7], v[147:148], v[6:7]
	v_fma_f64 v[30:31], v[54:55], s[4:5], -v[149:150]
	v_fma_f64 v[141:142], v[52:53], s[4:5], v[165:166]
	v_mul_f64 v[143:144], v[50:51], s[38:39]
	v_mul_f64 v[147:148], v[48:49], s[38:39]
	v_fma_f64 v[22:23], v[94:95], s[2:3], v[22:23]
	v_fma_f64 v[24:25], v[92:93], s[2:3], -v[24:25]
	s_mov_b32 s43, 0x3fd71e95
	s_mov_b32 s42, s24
	v_add_f64 v[14:15], v[26:27], v[14:15]
	v_add_f64 v[26:27], v[139:140], v[28:29]
	;; [unrolled: 1-line block ×4, first 2 shown]
	v_fma_f64 v[28:29], v[42:43], s[6:7], -v[143:144]
	v_fma_f64 v[30:31], v[44:45], s[6:7], v[147:148]
	v_mul_f64 v[139:140], v[46:47], s[42:43]
	v_mul_f64 v[141:142], v[40:41], s[42:43]
	v_add_f64 v[18:19], v[22:23], v[18:19]
	v_add_f64 v[22:23], v[24:25], v[157:158]
	v_fma_f64 v[12:13], v[88:89], s[16:17], v[12:13]
	v_fma_f64 v[16:17], v[84:85], s[16:17], -v[16:17]
	v_fma_f64 v[24:25], v[38:39], s[30:31], v[137:138]
	v_fma_f64 v[137:138], v[36:37], s[30:31], -v[145:146]
	v_add_f64 v[28:29], v[28:29], v[4:5]
	v_add_f64 v[30:31], v[30:31], v[6:7]
	v_fma_f64 v[145:146], v[38:39], s[20:21], -v[139:140]
	v_fma_f64 v[157:158], v[36:37], s[20:21], v[141:142]
	v_add_f64 v[12:13], v[12:13], v[18:19]
	v_add_f64 v[22:23], v[16:17], v[22:23]
	v_fma_f64 v[153:154], v[68:69], s[30:31], v[153:154]
	v_fma_f64 v[155:156], v[66:67], s[30:31], -v[155:156]
	v_add_f64 v[4:5], v[24:25], v[14:15]
	v_add_f64 v[6:7], v[137:138], v[26:27]
	v_mul_f64 v[24:25], v[102:103], s[18:19]
	v_mul_f64 v[26:27], v[100:101], s[18:19]
	s_mov_b32 s45, 0x3fc7851a
	s_mov_b32 s44, s36
	v_add_f64 v[16:17], v[145:146], v[28:29]
	v_add_f64 v[18:19], v[157:158], v[30:31]
	;; [unrolled: 1-line block ×4, first 2 shown]
	v_fma_f64 v[22:23], v[62:63], s[26:27], v[151:152]
	v_fma_f64 v[28:29], v[60:61], s[26:27], -v[163:164]
	v_fma_f64 v[30:31], v[94:95], s[16:17], -v[24:25]
	v_fma_f64 v[137:138], v[92:93], s[16:17], v[26:27]
	v_mul_f64 v[145:146], v[98:99], s[44:45]
	v_mul_f64 v[151:152], v[96:97], s[44:45]
	;; [unrolled: 1-line block ×4, first 2 shown]
	v_add_f64 v[12:13], v[22:23], v[12:13]
	v_add_f64 v[14:15], v[28:29], v[14:15]
	v_fma_f64 v[22:23], v[54:55], s[4:5], v[149:150]
	v_fma_f64 v[28:29], v[52:53], s[4:5], -v[165:166]
	v_add_f64 v[30:31], v[30:31], v[159:160]
	v_add_f64 v[137:138], v[137:138], v[161:162]
	v_fma_f64 v[149:150], v[88:89], s[30:31], -v[145:146]
	v_fma_f64 v[153:154], v[84:85], s[30:31], v[151:152]
	s_mov_b32 s45, 0x3fe58eea
	s_mov_b32 s44, s34
	v_add_f64 v[12:13], v[22:23], v[12:13]
	v_add_f64 v[14:15], v[28:29], v[14:15]
	v_fma_f64 v[22:23], v[42:43], s[6:7], v[143:144]
	v_fma_f64 v[28:29], v[44:45], s[6:7], -v[147:148]
	v_add_f64 v[30:31], v[149:150], v[30:31]
	v_add_f64 v[137:138], v[153:154], v[137:138]
	v_fma_f64 v[143:144], v[68:69], s[4:5], -v[155:156]
	v_fma_f64 v[147:148], v[66:67], s[4:5], v[157:158]
	v_mul_f64 v[149:150], v[70:71], s[44:45]
	v_mul_f64 v[153:154], v[64:65], s[44:45]
	v_add_f64 v[12:13], v[22:23], v[12:13]
	v_add_f64 v[14:15], v[28:29], v[14:15]
	v_fma_f64 v[22:23], v[38:39], s[20:21], v[139:140]
	v_fma_f64 v[28:29], v[36:37], s[20:21], -v[141:142]
	v_add_f64 v[30:31], v[143:144], v[30:31]
	v_add_f64 v[137:138], v[147:148], v[137:138]
	v_fma_f64 v[139:140], v[62:63], s[14:15], -v[149:150]
	v_fma_f64 v[141:142], v[60:61], s[14:15], v[153:154]
	v_mul_f64 v[143:144], v[58:59], s[24:25]
	v_mul_f64 v[147:148], v[56:57], s[24:25]
	;; [unrolled: 10-line block ×8, first 2 shown]
	v_add_f64 v[24:25], v[139:140], v[24:25]
	v_add_f64 v[139:140], v[141:142], v[143:144]
	v_fma_f64 v[141:142], v[38:39], s[26:27], v[151:152]
	v_fma_f64 v[143:144], v[36:37], s[26:27], -v[159:160]
	v_add_f64 v[145:146], v[145:146], v[26:27]
	v_add_f64 v[28:29], v[147:148], v[28:29]
	v_fma_f64 v[147:148], v[62:63], s[6:7], -v[149:150]
	v_fma_f64 v[155:156], v[94:95], s[30:31], v[155:156]
	v_fma_f64 v[157:158], v[92:93], s[30:31], -v[157:158]
	v_fma_f64 v[151:152], v[60:61], s[6:7], v[153:154]
	v_add_f64 v[24:25], v[141:142], v[24:25]
	v_add_f64 v[26:27], v[143:144], v[139:140]
	v_mul_f64 v[139:140], v[58:59], s[22:23]
	v_mul_f64 v[141:142], v[56:57], s[22:23]
	v_add_f64 v[143:144], v[147:148], v[145:146]
	v_add_f64 v[145:146], v[155:156], v[177:178]
	;; [unrolled: 1-line block ×3, first 2 shown]
	v_fma_f64 v[30:31], v[88:89], s[4:5], v[30:31]
	v_fma_f64 v[137:138], v[84:85], s[4:5], -v[137:138]
	s_mov_b32 s51, 0x3fe9895b
	s_mov_b32 s50, s18
	v_add_f64 v[28:29], v[151:152], v[28:29]
	v_fma_f64 v[151:152], v[54:55], s[26:27], -v[139:140]
	v_fma_f64 v[155:156], v[52:53], s[26:27], v[141:142]
	v_mul_f64 v[157:158], v[50:51], s[50:51]
	v_mul_f64 v[159:160], v[48:49], s[50:51]
	v_add_f64 v[30:31], v[30:31], v[145:146]
	v_add_f64 v[137:138], v[137:138], v[147:148]
	v_fma_f64 v[145:146], v[68:69], s[20:21], v[161:162]
	v_fma_f64 v[147:148], v[66:67], s[20:21], -v[163:164]
	v_add_f64 v[143:144], v[151:152], v[143:144]
	v_add_f64 v[28:29], v[155:156], v[28:29]
	v_fma_f64 v[151:152], v[42:43], s[16:17], -v[157:158]
	v_fma_f64 v[155:156], v[44:45], s[16:17], v[159:160]
	v_mul_f64 v[161:162], v[46:47], s[44:45]
	v_mul_f64 v[163:164], v[40:41], s[44:45]
	v_add_f64 v[30:31], v[145:146], v[30:31]
	v_add_f64 v[137:138], v[147:148], v[137:138]
	v_fma_f64 v[145:146], v[62:63], s[6:7], v[149:150]
	v_fma_f64 v[147:148], v[60:61], s[6:7], -v[153:154]
	v_add_f64 v[143:144], v[151:152], v[143:144]
	v_add_f64 v[149:150], v[155:156], v[28:29]
	v_fma_f64 v[28:29], v[38:39], s[14:15], -v[161:162]
	v_fma_f64 v[151:152], v[36:37], s[14:15], v[163:164]
	v_mul_f64 v[153:154], v[102:103], s[48:49]
	v_mul_f64 v[155:156], v[100:101], s[48:49]
	v_add_f64 v[145:146], v[145:146], v[30:31]
	v_add_f64 v[137:138], v[147:148], v[137:138]
	v_fma_f64 v[139:140], v[54:55], s[26:27], v[139:140]
	v_fma_f64 v[141:142], v[52:53], s[26:27], -v[141:142]
	v_add_f64 v[28:29], v[28:29], v[143:144]
	v_add_f64 v[30:31], v[151:152], v[149:150]
	v_fma_f64 v[143:144], v[94:95], s[26:27], -v[153:154]
	v_fma_f64 v[147:148], v[92:93], s[26:27], v[155:156]
	v_mul_f64 v[149:150], v[98:99], s[44:45]
	v_mul_f64 v[151:152], v[96:97], s[44:45]
	v_add_f64 v[139:140], v[139:140], v[145:146]
	v_add_f64 v[137:138], v[141:142], v[137:138]
	v_fma_f64 v[141:142], v[42:43], s[16:17], v[157:158]
	v_fma_f64 v[145:146], v[44:45], s[16:17], -v[159:160]
	v_add_f64 v[32:33], v[143:144], v[32:33]
	v_add_f64 v[34:35], v[147:148], v[34:35]
	v_fma_f64 v[143:144], v[88:89], s[14:15], -v[149:150]
	v_fma_f64 v[147:148], v[84:85], s[14:15], v[151:152]
	v_mul_f64 v[157:158], v[90:91], s[40:41]
	v_mul_f64 v[159:160], v[86:87], s[40:41]
	v_add_f64 v[139:140], v[141:142], v[139:140]
	v_add_f64 v[137:138], v[145:146], v[137:138]
	v_fma_f64 v[141:142], v[38:39], s[14:15], v[161:162]
	v_fma_f64 v[145:146], v[36:37], s[14:15], -v[163:164]
	v_add_f64 v[143:144], v[143:144], v[32:33]
	v_add_f64 v[147:148], v[147:148], v[34:35]
	v_fma_f64 v[161:162], v[68:69], s[6:7], -v[157:158]
	v_fma_f64 v[163:164], v[66:67], s[6:7], v[159:160]
	v_fma_f64 v[153:154], v[94:95], s[26:27], v[153:154]
	v_fma_f64 v[155:156], v[92:93], s[26:27], -v[155:156]
	v_add_f64 v[32:33], v[141:142], v[139:140]
	v_add_f64 v[34:35], v[145:146], v[137:138]
	v_mul_f64 v[137:138], v[70:71], s[36:37]
	v_mul_f64 v[139:140], v[64:65], s[36:37]
	s_mov_b32 s41, 0x3fefdd0d
	s_mov_b32 s40, s28
	v_add_f64 v[141:142], v[161:162], v[143:144]
	v_add_f64 v[143:144], v[163:164], v[147:148]
	;; [unrolled: 1-line block ×4, first 2 shown]
	v_fma_f64 v[145:146], v[88:89], s[14:15], v[149:150]
	v_fma_f64 v[147:148], v[84:85], s[14:15], -v[151:152]
	v_fma_f64 v[149:150], v[62:63], s[30:31], -v[137:138]
	v_fma_f64 v[151:152], v[60:61], s[30:31], v[139:140]
	v_mul_f64 v[153:154], v[58:59], s[40:41]
	v_mul_f64 v[155:156], v[56:57], s[40:41]
	v_fma_f64 v[137:138], v[62:63], s[30:31], v[137:138]
	v_fma_f64 v[139:140], v[60:61], s[30:31], -v[139:140]
	v_add_f64 v[128:129], v[145:146], v[128:129]
	v_add_f64 v[130:131], v[147:148], v[130:131]
	v_fma_f64 v[145:146], v[68:69], s[6:7], v[157:158]
	v_fma_f64 v[147:148], v[66:67], s[6:7], -v[159:160]
	v_add_f64 v[141:142], v[149:150], v[141:142]
	v_add_f64 v[143:144], v[151:152], v[143:144]
	v_fma_f64 v[149:150], v[54:55], s[2:3], -v[153:154]
	v_fma_f64 v[151:152], v[52:53], s[2:3], v[155:156]
	v_mul_f64 v[157:158], v[50:51], s[24:25]
	v_mul_f64 v[159:160], v[48:49], s[24:25]
	v_add_f64 v[128:129], v[145:146], v[128:129]
	v_add_f64 v[130:131], v[147:148], v[130:131]
	v_mul_f64 v[161:162], v[90:91], s[22:23]
	v_mul_f64 v[163:164], v[86:87], s[22:23]
	v_add_f64 v[141:142], v[149:150], v[141:142]
	v_add_f64 v[143:144], v[151:152], v[143:144]
	v_fma_f64 v[145:146], v[42:43], s[20:21], -v[157:158]
	v_fma_f64 v[147:148], v[44:45], s[20:21], v[159:160]
	v_mul_f64 v[149:150], v[46:47], s[18:19]
	v_mul_f64 v[151:152], v[40:41], s[18:19]
	v_add_f64 v[128:129], v[137:138], v[128:129]
	v_add_f64 v[130:131], v[139:140], v[130:131]
	v_fma_f64 v[137:138], v[54:55], s[2:3], v[153:154]
	v_fma_f64 v[139:140], v[52:53], s[2:3], -v[155:156]
	v_add_f64 v[141:142], v[145:146], v[141:142]
	v_add_f64 v[143:144], v[147:148], v[143:144]
	v_fma_f64 v[145:146], v[38:39], s[16:17], -v[149:150]
	v_fma_f64 v[147:148], v[36:37], s[16:17], v[151:152]
	v_mul_f64 v[153:154], v[102:103], s[46:47]
	v_mul_f64 v[155:156], v[100:101], s[46:47]
	v_add_f64 v[137:138], v[137:138], v[128:129]
	v_add_f64 v[139:140], v[139:140], v[130:131]
	v_fma_f64 v[157:158], v[42:43], s[20:21], v[157:158]
	v_fma_f64 v[159:160], v[44:45], s[20:21], -v[159:160]
	;; [unrolled: 10-line block ×3, first 2 shown]
	v_add_f64 v[141:142], v[141:142], v[124:125]
	v_add_f64 v[143:144], v[143:144], v[126:127]
	v_fma_f64 v[157:158], v[88:89], s[20:21], -v[145:146]
	v_fma_f64 v[159:160], v[84:85], s[20:21], v[147:148]
	s_barrier
	v_add_f64 v[124:125], v[149:150], v[137:138]
	v_add_f64 v[126:127], v[151:152], v[139:140]
	v_fma_f64 v[137:138], v[94:95], s[4:5], v[153:154]
	v_fma_f64 v[139:140], v[92:93], s[4:5], -v[155:156]
	v_add_f64 v[141:142], v[157:158], v[141:142]
	v_add_f64 v[143:144], v[159:160], v[143:144]
	v_fma_f64 v[149:150], v[68:69], s[26:27], -v[161:162]
	v_fma_f64 v[151:152], v[66:67], s[26:27], v[163:164]
	v_mul_f64 v[153:154], v[70:71], s[40:41]
	v_mul_f64 v[155:156], v[64:65], s[40:41]
	v_add_f64 v[120:121], v[137:138], v[120:121]
	v_add_f64 v[122:123], v[139:140], v[122:123]
	v_fma_f64 v[137:138], v[88:89], s[20:21], v[145:146]
	v_fma_f64 v[139:140], v[84:85], s[20:21], -v[147:148]
	v_add_f64 v[141:142], v[149:150], v[141:142]
	v_add_f64 v[143:144], v[151:152], v[143:144]
	v_fma_f64 v[145:146], v[62:63], s[2:3], -v[153:154]
	v_fma_f64 v[147:148], v[60:61], s[2:3], v[155:156]
	v_mul_f64 v[149:150], v[58:59], s[34:35]
	v_mul_f64 v[151:152], v[56:57], s[34:35]
	;; [unrolled: 10-line block ×12, first 2 shown]
	v_fma_f64 v[94:95], v[94:95], s[20:21], v[102:103]
	v_fma_f64 v[92:93], v[92:93], s[20:21], -v[100:101]
	v_add_f64 v[112:113], v[137:138], v[112:113]
	v_add_f64 v[114:115], v[139:140], v[114:115]
	v_fma_f64 v[102:103], v[42:43], s[14:15], v[157:158]
	v_add_f64 v[106:107], v[145:146], v[106:107]
	v_add_f64 v[108:109], v[147:148], v[108:109]
	v_fma_f64 v[137:138], v[88:89], s[26:27], -v[98:99]
	v_fma_f64 v[139:140], v[84:85], s[26:27], v[96:97]
	v_mul_f64 v[90:91], v[90:91], s[44:45]
	v_add_f64 v[94:95], v[94:95], v[110:111]
	v_mul_f64 v[86:87], v[86:87], s[44:45]
	v_fma_f64 v[88:89], v[88:89], s[26:27], v[98:99]
	v_add_f64 v[92:93], v[92:93], v[104:105]
	v_fma_f64 v[84:85], v[84:85], s[26:27], -v[96:97]
	v_add_f64 v[98:99], v[102:103], v[112:113]
	v_add_f64 v[100:101], v[137:138], v[106:107]
	;; [unrolled: 1-line block ×3, first 2 shown]
	v_fma_f64 v[96:97], v[68:69], s[14:15], -v[90:91]
	v_fma_f64 v[104:105], v[66:67], s[14:15], v[86:87]
	v_add_f64 v[88:89], v[88:89], v[94:95]
	v_mul_f64 v[70:71], v[70:71], s[18:19]
	v_fma_f64 v[68:69], v[68:69], s[14:15], v[90:91]
	v_mul_f64 v[64:65], v[64:65], s[18:19]
	v_add_f64 v[84:85], v[84:85], v[92:93]
	v_fma_f64 v[66:67], v[66:67], s[14:15], -v[86:87]
	v_add_f64 v[86:87], v[96:97], v[100:101]
	v_add_f64 v[92:93], v[104:105], v[102:103]
	v_mul_f64 v[58:59], v[58:59], s[38:39]
	v_fma_f64 v[94:95], v[62:63], s[16:17], -v[70:71]
	v_add_f64 v[68:69], v[68:69], v[88:89]
	v_fma_f64 v[88:89], v[60:61], s[16:17], v[64:65]
	v_fma_f64 v[62:63], v[62:63], s[16:17], v[70:71]
	v_add_f64 v[66:67], v[66:67], v[84:85]
	v_mul_f64 v[56:57], v[56:57], s[38:39]
	v_fma_f64 v[60:61], v[60:61], s[16:17], -v[64:65]
	v_mul_f64 v[50:51], v[50:51], s[10:11]
	v_add_f64 v[70:71], v[94:95], v[86:87]
	v_mul_f64 v[48:49], v[48:49], s[10:11]
	v_add_f64 v[84:85], v[88:89], v[92:93]
	v_add_f64 v[62:63], v[62:63], v[68:69]
	v_fma_f64 v[68:69], v[54:55], s[6:7], -v[58:59]
	v_fma_f64 v[88:89], v[52:53], s[6:7], v[56:57]
	v_add_f64 v[60:61], v[60:61], v[66:67]
	v_fma_f64 v[54:55], v[54:55], s[6:7], v[58:59]
	v_fma_f64 v[52:53], v[52:53], s[6:7], -v[56:57]
	v_fma_f64 v[90:91], v[44:45], s[14:15], -v[159:160]
	v_mul_f64 v[86:87], v[46:47], s[10:11]
	v_mul_f64 v[46:47], v[46:47], s[40:41]
	v_add_f64 v[56:57], v[68:69], v[70:71]
	v_add_f64 v[66:67], v[88:89], v[84:85]
	v_mul_f64 v[68:69], v[40:41], s[10:11]
	v_add_f64 v[54:55], v[54:55], v[62:63]
	v_fma_f64 v[62:63], v[42:43], s[4:5], -v[50:51]
	v_add_f64 v[52:53], v[52:53], v[60:61]
	v_fma_f64 v[60:61], v[44:45], s[4:5], v[48:49]
	v_mul_f64 v[40:41], v[40:41], s[40:41]
	v_fma_f64 v[42:43], v[42:43], s[4:5], v[50:51]
	v_fma_f64 v[44:45], v[44:45], s[4:5], -v[48:49]
	v_add_f64 v[64:65], v[90:91], v[114:115]
	v_fma_f64 v[58:59], v[38:39], s[4:5], -v[86:87]
	v_fma_f64 v[50:51], v[36:37], s[4:5], v[68:69]
	v_fma_f64 v[48:49], v[38:39], s[4:5], v[86:87]
	v_fma_f64 v[68:69], v[36:37], s[4:5], -v[68:69]
	v_add_f64 v[56:57], v[62:63], v[56:57]
	v_add_f64 v[60:61], v[60:61], v[66:67]
	v_fma_f64 v[62:63], v[38:39], s[2:3], -v[46:47]
	v_fma_f64 v[66:67], v[36:37], s[2:3], v[40:41]
	v_add_f64 v[54:55], v[42:43], v[54:55]
	v_add_f64 v[52:53], v[44:45], v[52:53]
	v_fma_f64 v[70:71], v[38:39], s[2:3], v[46:47]
	v_fma_f64 v[84:85], v[36:37], s[2:3], -v[40:41]
	s_movk_i32 s2, 0x110
	v_add_f64 v[36:37], v[58:59], v[141:142]
	v_add_f64 v[38:39], v[50:51], v[143:144]
	;; [unrolled: 1-line block ×8, first 2 shown]
	v_mad_u32_u24 v52, v72, s2, v133
	ds_write_b128 v52, v[8:11]
	ds_write_b128 v52, v[0:3] offset:16
	ds_write_b128 v52, v[16:19] offset:32
	;; [unrolled: 1-line block ×16, first 2 shown]
	s_waitcnt lgkmcnt(0)
	s_barrier
	v_lshl_add_u32 v102, v83, 4, v133
	v_lshl_add_u32 v101, v82, 4, v133
	;; [unrolled: 1-line block ×7, first 2 shown]
	ds_read_b128 v[24:27], v132
	ds_read_b128 v[60:63], v135 offset:9248
	ds_read_b128 v[48:51], v135 offset:10336
	;; [unrolled: 1-line block ×3, first 2 shown]
	ds_read_b128 v[28:31], v101
	ds_read_b128 v[20:23], v100
	ds_read_b128 v[52:55], v135 offset:12512
	ds_read_b128 v[40:43], v135 offset:13600
	ds_read_b128 v[12:15], v99
	ds_read_b128 v[8:11], v98
	ds_read_b128 v[56:59], v135 offset:14688
	ds_read_b128 v[44:47], v135 offset:15776
	ds_read_b128 v[16:19], v97
	ds_read_b128 v[0:3], v96
	;; [unrolled: 1-line block ×3, first 2 shown]
	ds_read_b128 v[64:67], v135 offset:16864
	v_cmp_gt_u32_e64 s[2:3], 34, v72
	v_lshlrev_b32_e32 v73, 4, v76
                                        ; implicit-def: $vgpr70_vgpr71
	s_and_saveexec_b64 s[4:5], s[2:3]
	s_cbranch_execz .LBB0_14
; %bb.13:
	v_add3_u32 v4, 0, v73, v136
	ds_read_b128 v[4:7], v4
	ds_read_b128 v[68:71], v135 offset:17952
.LBB0_14:
	s_or_b64 exec, exec, s[4:5]
	s_movk_i32 s4, 0xf1
	v_mul_lo_u16_sdwa v84, v72, s4 dst_sel:DWORD dst_unused:UNUSED_PAD src0_sel:BYTE_0 src1_sel:DWORD
	v_lshrrev_b16_e32 v131, 12, v84
	v_mul_lo_u16_e32 v84, 17, v131
	v_sub_u16_e32 v84, v72, v84
	v_mov_b32_e32 v85, 4
	v_lshlrev_b32_sdwa v153, v85, v84 dst_sel:DWORD dst_unused:UNUSED_PAD src0_sel:DWORD src1_sel:BYTE_0
	v_mul_lo_u16_sdwa v84, v83, s4 dst_sel:DWORD dst_unused:UNUSED_PAD src0_sel:BYTE_0 src1_sel:DWORD
	v_lshrrev_b16_e32 v154, 12, v84
	v_mul_lo_u16_e32 v84, 17, v154
	v_sub_u16_e32 v84, v83, v84
	v_lshlrev_b32_sdwa v155, v85, v84 dst_sel:DWORD dst_unused:UNUSED_PAD src0_sel:DWORD src1_sel:BYTE_0
	v_mul_lo_u16_sdwa v84, v82, s4 dst_sel:DWORD dst_unused:UNUSED_PAD src0_sel:BYTE_0 src1_sel:DWORD
	v_lshrrev_b16_e32 v156, 12, v84
	v_mul_lo_u16_e32 v84, 17, v156
	v_sub_u16_e32 v84, v82, v84
	s_mov_b32 s4, 0xf0f1
	v_lshlrev_b32_sdwa v157, v85, v84 dst_sel:DWORD dst_unused:UNUSED_PAD src0_sel:DWORD src1_sel:BYTE_0
	v_mul_u32_u24_sdwa v84, v81, s4 dst_sel:DWORD dst_unused:UNUSED_PAD src0_sel:WORD_0 src1_sel:DWORD
	v_lshrrev_b32_e32 v158, 20, v84
	v_mul_lo_u16_e32 v84, 17, v158
	v_sub_u16_e32 v84, v81, v84
	v_lshlrev_b32_e32 v159, 4, v84
	v_mul_u32_u24_sdwa v84, v80, s4 dst_sel:DWORD dst_unused:UNUSED_PAD src0_sel:WORD_0 src1_sel:DWORD
	v_lshrrev_b32_e32 v160, 20, v84
	v_mul_lo_u16_e32 v84, 17, v160
	v_sub_u16_e32 v84, v80, v84
	global_load_dwordx4 v[86:89], v153, s[8:9]
	global_load_dwordx4 v[90:93], v155, s[8:9]
	v_lshlrev_b32_e32 v161, 4, v84
	v_mul_u32_u24_sdwa v84, v79, s4 dst_sel:DWORD dst_unused:UNUSED_PAD src0_sel:WORD_0 src1_sel:DWORD
	v_lshrrev_b32_e32 v162, 20, v84
	v_mul_lo_u16_e32 v84, 17, v162
	v_sub_u16_e32 v84, v79, v84
	global_load_dwordx4 v[103:106], v157, s[8:9]
	global_load_dwordx4 v[107:110], v159, s[8:9]
	;; [unrolled: 7-line block ×3, first 2 shown]
	v_lshlrev_b32_e32 v165, 4, v84
	v_mul_u32_u24_sdwa v84, v77, s4 dst_sel:DWORD dst_unused:UNUSED_PAD src0_sel:WORD_0 src1_sel:DWORD
	v_lshrrev_b32_e32 v166, 20, v84
	v_mul_lo_u16_e32 v84, 17, v166
	v_sub_u16_e32 v84, v77, v84
	v_lshlrev_b32_e32 v167, 4, v84
	global_load_dwordx4 v[119:122], v165, s[8:9]
	global_load_dwordx4 v[123:126], v167, s[8:9]
	v_mul_u32_u24_sdwa v84, v76, s4 dst_sel:DWORD dst_unused:UNUSED_PAD src0_sel:WORD_0 src1_sel:DWORD
	v_lshrrev_b32_e32 v84, 20, v84
	v_mul_lo_u16_e32 v85, 17, v84
	v_sub_u16_e32 v85, v76, v85
	v_lshlrev_b32_e32 v94, 4, v85
	global_load_dwordx4 v[127:130], v94, s[8:9]
	s_movk_i32 s4, 0x220
	s_waitcnt vmcnt(0) lgkmcnt(0)
	s_barrier
	v_mul_f64 v[94:95], v[62:63], v[88:89]
	v_mul_f64 v[88:89], v[60:61], v[88:89]
	;; [unrolled: 1-line block ×8, first 2 shown]
	v_fma_f64 v[60:61], v[60:61], v[86:87], -v[94:95]
	v_fma_f64 v[62:63], v[62:63], v[86:87], v[88:89]
	v_mul_f64 v[143:144], v[42:43], v[113:114]
	v_mul_f64 v[113:114], v[40:41], v[113:114]
	;; [unrolled: 1-line block ×4, first 2 shown]
	v_fma_f64 v[48:49], v[48:49], v[90:91], -v[137:138]
	v_fma_f64 v[50:51], v[50:51], v[90:91], v[92:93]
	v_fma_f64 v[86:87], v[36:37], v[103:104], -v[139:140]
	v_mul_f64 v[147:148], v[46:47], v[121:122]
	v_mul_f64 v[121:122], v[44:45], v[121:122]
	v_fma_f64 v[88:89], v[38:39], v[103:104], v[105:106]
	v_mul_f64 v[149:150], v[66:67], v[125:126]
	v_mul_f64 v[125:126], v[64:65], v[125:126]
	v_fma_f64 v[52:53], v[52:53], v[107:108], -v[141:142]
	v_fma_f64 v[54:55], v[54:55], v[107:108], v[109:110]
	v_fma_f64 v[90:91], v[40:41], v[111:112], -v[143:144]
	v_fma_f64 v[92:93], v[42:43], v[111:112], v[113:114]
	v_add_f64 v[36:37], v[24:25], -v[60:61]
	v_add_f64 v[38:39], v[26:27], -v[62:63]
	v_fma_f64 v[56:57], v[56:57], v[115:116], -v[145:146]
	v_fma_f64 v[58:59], v[58:59], v[115:116], v[117:118]
	v_add_f64 v[40:41], v[32:33], -v[48:49]
	v_add_f64 v[42:43], v[34:35], -v[50:51]
	;; [unrolled: 4-line block ×3, first 2 shown]
	v_mul_f64 v[151:152], v[70:71], v[129:130]
	v_mul_f64 v[129:130], v[68:69], v[129:130]
	v_fma_f64 v[64:65], v[64:65], v[123:124], -v[149:150]
	v_fma_f64 v[66:67], v[66:67], v[123:124], v[125:126]
	v_add_f64 v[48:49], v[20:21], -v[52:53]
	v_add_f64 v[50:51], v[22:23], -v[54:55]
	;; [unrolled: 1-line block ×4, first 2 shown]
	v_fma_f64 v[24:25], v[24:25], 2.0, -v[36:37]
	v_fma_f64 v[26:27], v[26:27], 2.0, -v[38:39]
	;; [unrolled: 1-line block ×4, first 2 shown]
	v_add_f64 v[56:57], v[8:9], -v[56:57]
	v_add_f64 v[58:59], v[10:11], -v[58:59]
	v_fma_f64 v[28:29], v[28:29], 2.0, -v[44:45]
	v_fma_f64 v[30:31], v[30:31], 2.0, -v[46:47]
	v_add_f64 v[60:61], v[16:17], -v[94:95]
	v_add_f64 v[62:63], v[18:19], -v[103:104]
	v_fma_f64 v[105:106], v[68:69], v[127:128], -v[151:152]
	v_fma_f64 v[107:108], v[70:71], v[127:128], v[129:130]
	v_fma_f64 v[20:21], v[20:21], 2.0, -v[48:49]
	v_fma_f64 v[22:23], v[22:23], 2.0, -v[50:51]
	v_add_f64 v[64:65], v[0:1], -v[64:65]
	v_add_f64 v[66:67], v[2:3], -v[66:67]
	v_mad_u32_u24 v86, v131, s4, 0
	v_add3_u32 v86, v86, v153, v136
	v_fma_f64 v[12:13], v[12:13], 2.0, -v[52:53]
	v_fma_f64 v[14:15], v[14:15], 2.0, -v[54:55]
	ds_write_b128 v86, v[24:27]
	ds_write_b128 v86, v[36:39] offset:272
	v_mad_u32_u24 v24, v154, s4, 0
	v_add3_u32 v24, v24, v155, v136
	v_fma_f64 v[8:9], v[8:9], 2.0, -v[56:57]
	v_fma_f64 v[10:11], v[10:11], 2.0, -v[58:59]
	ds_write_b128 v24, v[32:35]
	ds_write_b128 v24, v[40:43] offset:272
	;; [unrolled: 6-line block ×3, first 2 shown]
	v_mad_u32_u24 v24, v158, s4, 0
	v_add3_u32 v24, v24, v159, v136
	v_fma_f64 v[68:69], v[0:1], 2.0, -v[64:65]
	v_fma_f64 v[70:71], v[2:3], 2.0, -v[66:67]
	v_add_f64 v[0:1], v[4:5], -v[105:106]
	v_add_f64 v[2:3], v[6:7], -v[107:108]
	ds_write_b128 v24, v[20:23]
	ds_write_b128 v24, v[48:51] offset:272
	v_mad_u32_u24 v20, v160, s4, 0
	v_add3_u32 v20, v20, v161, v136
	ds_write_b128 v20, v[12:15]
	ds_write_b128 v20, v[52:55] offset:272
	v_mad_u32_u24 v12, v162, s4, 0
	v_add3_u32 v12, v12, v163, v136
	;; [unrolled: 4-line block ×4, first 2 shown]
	ds_write_b128 v8, v[68:71]
	ds_write_b128 v8, v[64:67] offset:272
	s_and_saveexec_b64 s[4:5], s[2:3]
	s_cbranch_execz .LBB0_16
; %bb.15:
	v_fma_f64 v[6:7], v[6:7], 2.0, -v[2:3]
	v_fma_f64 v[4:5], v[4:5], 2.0, -v[0:1]
	v_mul_lo_u16_e32 v8, 34, v84
	v_lshl_add_u32 v9, v85, 4, 0
	v_lshlrev_b32_e32 v8, 4, v8
	v_add3_u32 v8, v9, v8, v136
	ds_write_b128 v8, v[4:7]
	ds_write_b128 v8, v[0:3] offset:272
.LBB0_16:
	s_or_b64 exec, exec, s[4:5]
	v_subrev_u32_e32 v85, 34, v72
	v_cndmask_b32_e64 v4, v85, v72, s[2:3]
	v_lshlrev_b32_e32 v86, 4, v4
	v_mov_b32_e32 v87, 0
	v_lshlrev_b64 v[4:5], 4, v[86:87]
	v_mov_b32_e32 v6, s9
	v_add_co_u32_e32 v24, vcc, s8, v4
	v_addc_co_u32_e32 v25, vcc, v6, v5, vcc
	s_waitcnt lgkmcnt(0)
	s_barrier
	global_load_dwordx4 v[4:7], v[24:25], off offset:272
	global_load_dwordx4 v[8:11], v[24:25], off offset:288
	global_load_dwordx4 v[12:15], v[24:25], off offset:304
	global_load_dwordx4 v[16:19], v[24:25], off offset:320
	global_load_dwordx4 v[20:23], v[24:25], off offset:336
	global_load_dwordx4 v[26:29], v[24:25], off offset:352
	global_load_dwordx4 v[30:33], v[24:25], off offset:368
	global_load_dwordx4 v[36:39], v[24:25], off offset:384
	global_load_dwordx4 v[40:43], v[24:25], off offset:400
	global_load_dwordx4 v[44:47], v[24:25], off offset:416
	global_load_dwordx4 v[48:51], v[24:25], off offset:432
	global_load_dwordx4 v[52:55], v[24:25], off offset:448
	global_load_dwordx4 v[56:59], v[24:25], off offset:464
	global_load_dwordx4 v[60:63], v[24:25], off offset:480
	ds_read_b128 v[64:67], v101
	ds_read_b128 v[68:71], v100
	global_load_dwordx4 v[88:91], v[24:25], off offset:512
	global_load_dwordx4 v[92:95], v[24:25], off offset:496
	ds_read_b128 v[103:106], v99
	ds_read_b128 v[107:110], v98
	;; [unrolled: 1-line block ×5, first 2 shown]
	ds_read_b128 v[123:126], v135 offset:9792
	ds_read_b128 v[127:130], v135 offset:10880
	;; [unrolled: 1-line block ×7, first 2 shown]
	ds_read_b128 v[157:160], v102
	ds_read_b128 v[161:164], v135 offset:17408
	v_add3_u32 v73, 0, v73, v136
	ds_read_b128 v[165:168], v73
	s_mov_b32 s26, 0x5d8e7cdc
	s_mov_b32 s27, 0xbfd71e95
	;; [unrolled: 1-line block ×34, first 2 shown]
	v_mov_b32_e32 v84, 0x2420
	v_cmp_lt_u32_e32 vcc, 33, v72
	v_cndmask_b32_e32 v84, 0, v84, vcc
	v_add_u32_e32 v84, 0, v84
	v_add3_u32 v84, v84, v86, v136
	s_waitcnt vmcnt(0) lgkmcnt(0)
	s_barrier
	v_mul_f64 v[24:25], v[159:160], v[6:7]
	v_mul_f64 v[6:7], v[157:158], v[6:7]
	;; [unrolled: 1-line block ×8, first 2 shown]
	v_fma_f64 v[157:158], v[157:158], v[4:5], -v[24:25]
	v_fma_f64 v[4:5], v[159:160], v[4:5], v[6:7]
	v_fma_f64 v[64:65], v[64:65], v[8:9], -v[34:35]
	v_fma_f64 v[66:67], v[66:67], v[8:9], v[10:11]
	;; [unrolled: 2-line block ×3, first 2 shown]
	v_mul_f64 v[173:174], v[109:110], v[22:23]
	v_mul_f64 v[22:23], v[107:108], v[22:23]
	v_add_f64 v[8:9], v[119:120], v[157:158]
	v_add_f64 v[10:11], v[121:122], v[4:5]
	v_mul_f64 v[175:176], v[113:114], v[28:29]
	v_mul_f64 v[28:29], v[111:112], v[28:29]
	;; [unrolled: 1-line block ×4, first 2 shown]
	v_fma_f64 v[103:104], v[103:104], v[16:17], -v[171:172]
	v_fma_f64 v[105:106], v[105:106], v[16:17], v[18:19]
	v_add_f64 v[8:9], v[8:9], v[64:65]
	v_add_f64 v[10:11], v[10:11], v[66:67]
	v_mul_f64 v[183:184], v[125:126], v[42:43]
	v_mul_f64 v[42:43], v[123:124], v[42:43]
	v_fma_f64 v[32:33], v[107:108], v[20:21], -v[173:174]
	v_fma_f64 v[34:35], v[109:110], v[20:21], v[22:23]
	v_fma_f64 v[24:25], v[111:112], v[26:27], -v[175:176]
	v_fma_f64 v[26:27], v[113:114], v[26:27], v[28:29]
	v_add_f64 v[8:9], v[8:9], v[68:69]
	v_add_f64 v[10:11], v[10:11], v[70:71]
	v_fma_f64 v[16:17], v[115:116], v[30:31], -v[177:178]
	v_fma_f64 v[18:19], v[117:118], v[30:31], v[179:180]
	v_fma_f64 v[12:13], v[123:124], v[40:41], -v[183:184]
	v_fma_f64 v[14:15], v[125:126], v[40:41], v[42:43]
	v_mul_f64 v[181:182], v[167:168], v[38:39]
	v_mul_f64 v[38:39], v[165:166], v[38:39]
	v_add_f64 v[28:29], v[8:9], v[103:104]
	v_add_f64 v[30:31], v[10:11], v[105:106]
	v_mul_f64 v[185:186], v[129:130], v[46:47]
	v_mul_f64 v[46:47], v[127:128], v[46:47]
	;; [unrolled: 1-line block ×4, first 2 shown]
	v_fma_f64 v[8:9], v[165:166], v[36:37], -v[181:182]
	v_fma_f64 v[10:11], v[167:168], v[36:37], v[38:39]
	v_add_f64 v[40:41], v[28:29], v[32:33]
	v_add_f64 v[42:43], v[30:31], v[34:35]
	v_mul_f64 v[191:192], v[163:164], v[90:91]
	v_mul_f64 v[90:91], v[161:162], v[90:91]
	v_fma_f64 v[20:21], v[127:128], v[44:45], -v[185:186]
	v_fma_f64 v[22:23], v[129:130], v[44:45], v[46:47]
	v_mul_f64 v[159:160], v[143:144], v[54:55]
	v_mul_f64 v[54:55], v[141:142], v[54:55]
	v_add_f64 v[40:41], v[40:41], v[24:25]
	v_add_f64 v[42:43], v[42:43], v[26:27]
	v_fma_f64 v[28:29], v[137:138], v[48:49], -v[6:7]
	v_fma_f64 v[30:31], v[139:140], v[48:49], v[50:51]
	v_fma_f64 v[6:7], v[163:164], v[88:89], v[90:91]
	v_mul_f64 v[187:188], v[147:148], v[58:59]
	v_mul_f64 v[58:59], v[145:146], v[58:59]
	;; [unrolled: 1-line block ×3, first 2 shown]
	v_add_f64 v[40:41], v[40:41], v[16:17]
	v_add_f64 v[42:43], v[42:43], v[18:19]
	v_mul_f64 v[62:63], v[149:150], v[62:63]
	v_fma_f64 v[36:37], v[141:142], v[52:53], -v[159:160]
	v_fma_f64 v[38:39], v[143:144], v[52:53], v[54:55]
	v_fma_f64 v[44:45], v[161:162], v[88:89], -v[191:192]
	v_add_f64 v[54:55], v[4:5], -v[6:7]
	v_fma_f64 v[46:47], v[145:146], v[56:57], -v[187:188]
	v_add_f64 v[40:41], v[40:41], v[8:9]
	v_add_f64 v[42:43], v[42:43], v[10:11]
	v_fma_f64 v[48:49], v[147:148], v[56:57], v[58:59]
	v_fma_f64 v[52:53], v[151:152], v[60:61], v[62:63]
	v_add_f64 v[88:89], v[4:5], v[6:7]
	v_add_f64 v[62:63], v[157:158], v[44:45]
	v_mul_f64 v[4:5], v[54:55], s[26:27]
	v_mul_f64 v[169:170], v[155:156], v[94:95]
	v_add_f64 v[40:41], v[40:41], v[12:13]
	v_add_f64 v[42:43], v[42:43], v[14:15]
	v_mul_f64 v[94:95], v[153:154], v[94:95]
	v_fma_f64 v[50:51], v[149:150], v[60:61], -v[189:190]
	v_add_f64 v[56:57], v[157:158], -v[44:45]
	v_mul_f64 v[107:108], v[54:55], s[42:43]
	v_fma_f64 v[127:128], v[62:63], s[18:19], -v[4:5]
	v_fma_f64 v[4:5], v[62:63], s[18:19], v[4:5]
	v_add_f64 v[40:41], v[40:41], v[20:21]
	v_add_f64 v[42:43], v[42:43], v[22:23]
	v_fma_f64 v[58:59], v[153:154], v[92:93], -v[169:170]
	v_fma_f64 v[60:61], v[155:156], v[92:93], v[94:95]
	v_mul_f64 v[92:93], v[54:55], s[34:35]
	v_mul_f64 v[94:95], v[56:57], s[34:35]
	;; [unrolled: 1-line block ×3, first 2 shown]
	v_add_f64 v[153:154], v[119:120], v[4:5]
	v_add_f64 v[40:41], v[40:41], v[28:29]
	;; [unrolled: 1-line block ×3, first 2 shown]
	v_mul_f64 v[111:112], v[54:55], s[28:29]
	v_mul_f64 v[113:114], v[56:57], s[28:29]
	;; [unrolled: 1-line block ×6, first 2 shown]
	v_add_f64 v[40:41], v[40:41], v[36:37]
	v_add_f64 v[42:43], v[42:43], v[38:39]
	v_mul_f64 v[125:126], v[56:57], s[22:23]
	v_fma_f64 v[137:138], v[62:63], s[14:15], -v[92:93]
	v_fma_f64 v[139:140], v[88:89], s[14:15], v[94:95]
	v_fma_f64 v[92:93], v[62:63], s[14:15], v[92:93]
	v_fma_f64 v[94:95], v[88:89], s[14:15], -v[94:95]
	v_fma_f64 v[141:142], v[62:63], s[6:7], -v[107:108]
	v_add_f64 v[40:41], v[40:41], v[46:47]
	v_add_f64 v[42:43], v[42:43], v[48:49]
	v_fma_f64 v[143:144], v[88:89], s[6:7], v[109:110]
	v_fma_f64 v[145:146], v[62:63], s[4:5], -v[111:112]
	v_fma_f64 v[147:148], v[88:89], s[4:5], v[113:114]
	v_fma_f64 v[149:150], v[62:63], s[10:11], -v[115:116]
	v_fma_f64 v[151:152], v[88:89], s[10:11], v[117:118]
	v_add_f64 v[163:164], v[64:65], -v[58:59]
	v_add_f64 v[4:5], v[40:41], v[50:51]
	v_add_f64 v[40:41], v[42:43], v[52:53]
	v_fma_f64 v[129:130], v[88:89], s[18:19], v[90:91]
	v_fma_f64 v[90:91], v[88:89], s[18:19], -v[90:91]
	v_fma_f64 v[107:108], v[62:63], s[6:7], v[107:108]
	v_fma_f64 v[109:110], v[88:89], s[6:7], -v[109:110]
	;; [unrolled: 2-line block ×3, first 2 shown]
	v_add_f64 v[4:5], v[4:5], v[58:59]
	v_add_f64 v[40:41], v[40:41], v[60:61]
	v_fma_f64 v[115:116], v[62:63], s[10:11], v[115:116]
	v_fma_f64 v[117:118], v[88:89], s[10:11], -v[117:118]
	v_add_f64 v[42:43], v[119:120], v[92:93]
	v_add_f64 v[92:93], v[121:122], v[94:95]
	;; [unrolled: 1-line block ×6, first 2 shown]
	v_mul_f64 v[40:41], v[54:55], s[24:25]
	v_mul_f64 v[44:45], v[56:57], s[24:25]
	;; [unrolled: 1-line block ×4, first 2 shown]
	v_add_f64 v[143:144], v[119:120], v[145:146]
	v_add_f64 v[145:146], v[121:122], v[147:148]
	;; [unrolled: 1-line block ×4, first 2 shown]
	v_fma_f64 v[151:152], v[62:63], s[20:21], -v[123:124]
	v_fma_f64 v[155:156], v[88:89], s[20:21], v[125:126]
	v_fma_f64 v[123:124], v[62:63], s[20:21], v[123:124]
	v_fma_f64 v[125:126], v[88:89], s[20:21], -v[125:126]
	v_fma_f64 v[157:158], v[62:63], s[30:31], -v[40:41]
	v_fma_f64 v[159:160], v[88:89], s[30:31], v[44:45]
	v_fma_f64 v[40:41], v[62:63], s[30:31], v[40:41]
	v_fma_f64 v[44:45], v[88:89], s[30:31], -v[44:45]
	v_add_f64 v[161:162], v[66:67], -v[60:61]
	v_add_f64 v[60:61], v[66:67], v[60:61]
	v_mul_f64 v[66:67], v[163:164], s[34:35]
	v_fma_f64 v[165:166], v[62:63], s[38:39], -v[54:55]
	v_fma_f64 v[167:168], v[88:89], s[38:39], v[56:57]
	v_fma_f64 v[54:55], v[62:63], s[38:39], v[54:55]
	v_fma_f64 v[56:57], v[88:89], s[38:39], -v[56:57]
	v_add_f64 v[127:128], v[119:120], v[127:128]
	v_add_f64 v[129:130], v[121:122], v[129:130]
	;; [unrolled: 1-line block ×18, first 2 shown]
	v_mul_f64 v[64:65], v[161:162], s[34:35]
	v_add_f64 v[40:41], v[119:120], v[40:41]
	v_add_f64 v[44:45], v[121:122], v[44:45]
	v_fma_f64 v[88:89], v[60:61], s[14:15], v[66:67]
	v_add_f64 v[165:166], v[119:120], v[165:166]
	v_add_f64 v[167:168], v[121:122], v[167:168]
	;; [unrolled: 1-line block ×4, first 2 shown]
	v_mul_f64 v[119:120], v[161:162], s[28:29]
	v_mul_f64 v[121:122], v[163:164], s[28:29]
	v_fma_f64 v[62:63], v[58:59], s[14:15], -v[64:65]
	v_add_f64 v[88:89], v[88:89], v[129:130]
	v_mul_f64 v[129:130], v[163:164], s[22:23]
	v_fma_f64 v[66:67], v[60:61], s[14:15], -v[66:67]
	v_fma_f64 v[64:65], v[58:59], s[14:15], v[64:65]
	v_fma_f64 v[169:170], v[58:59], s[4:5], -v[119:120]
	v_fma_f64 v[171:172], v[60:61], s[4:5], v[121:122]
	v_fma_f64 v[121:122], v[60:61], s[4:5], -v[121:122]
	v_add_f64 v[62:63], v[62:63], v[127:128]
	v_mul_f64 v[127:128], v[161:162], s[22:23]
	v_fma_f64 v[119:120], v[58:59], s[4:5], v[119:120]
	v_fma_f64 v[175:176], v[60:61], s[20:21], v[129:130]
	v_add_f64 v[66:67], v[66:67], v[90:91]
	v_add_f64 v[90:91], v[169:170], v[137:138]
	v_add_f64 v[137:138], v[171:172], v[139:140]
	v_add_f64 v[92:93], v[121:122], v[92:93]
	v_mul_f64 v[121:122], v[161:162], s[36:37]
	v_mul_f64 v[139:140], v[163:164], s[36:37]
	v_fma_f64 v[173:174], v[58:59], s[20:21], -v[127:128]
	v_add_f64 v[64:65], v[64:65], v[153:154]
	v_add_f64 v[42:43], v[119:120], v[42:43]
	;; [unrolled: 1-line block ×3, first 2 shown]
	v_mul_f64 v[141:142], v[161:162], s[50:51]
	v_mul_f64 v[153:154], v[163:164], s[50:51]
	v_fma_f64 v[127:128], v[58:59], s[20:21], v[127:128]
	v_fma_f64 v[129:130], v[60:61], s[20:21], -v[129:130]
	v_fma_f64 v[169:170], v[58:59], s[38:39], -v[121:122]
	v_fma_f64 v[171:172], v[60:61], s[38:39], v[139:140]
	v_add_f64 v[94:95], v[173:174], v[94:95]
	v_fma_f64 v[121:122], v[58:59], s[38:39], v[121:122]
	v_fma_f64 v[139:140], v[60:61], s[38:39], -v[139:140]
	v_fma_f64 v[173:174], v[58:59], s[30:31], -v[141:142]
	v_fma_f64 v[175:176], v[60:61], s[30:31], v[153:154]
	v_add_f64 v[107:108], v[127:128], v[107:108]
	v_add_f64 v[109:110], v[129:130], v[109:110]
	;; [unrolled: 1-line block ×4, first 2 shown]
	v_mul_f64 v[143:144], v[161:162], s[48:49]
	v_mul_f64 v[145:146], v[163:164], s[48:49]
	v_add_f64 v[111:112], v[121:122], v[111:112]
	v_add_f64 v[113:114], v[139:140], v[113:114]
	;; [unrolled: 1-line block ×4, first 2 shown]
	v_mul_f64 v[147:148], v[161:162], s[40:41]
	v_mul_f64 v[149:150], v[163:164], s[40:41]
	v_fma_f64 v[141:142], v[58:59], s[30:31], v[141:142]
	v_fma_f64 v[153:154], v[60:61], s[30:31], -v[153:154]
	v_fma_f64 v[169:170], v[58:59], s[10:11], -v[143:144]
	v_fma_f64 v[171:172], v[60:61], s[10:11], v[145:146]
	v_fma_f64 v[143:144], v[58:59], s[10:11], v[143:144]
	v_fma_f64 v[145:146], v[60:61], s[10:11], -v[145:146]
	v_fma_f64 v[173:174], v[58:59], s[6:7], -v[147:148]
	v_fma_f64 v[175:176], v[60:61], s[6:7], v[149:150]
	v_add_f64 v[115:116], v[141:142], v[115:116]
	v_add_f64 v[117:118], v[153:154], v[117:118]
	;; [unrolled: 1-line block ×4, first 2 shown]
	v_add_f64 v[153:154], v[70:71], -v[52:53]
	v_add_f64 v[155:156], v[68:69], -v[50:51]
	v_add_f64 v[123:124], v[143:144], v[123:124]
	v_add_f64 v[125:126], v[145:146], v[125:126]
	;; [unrolled: 1-line block ×4, first 2 shown]
	v_mul_f64 v[157:158], v[161:162], s[44:45]
	v_mul_f64 v[159:160], v[163:164], s[44:45]
	v_add_f64 v[50:51], v[68:69], v[50:51]
	v_add_f64 v[52:53], v[70:71], v[52:53]
	v_mul_f64 v[68:69], v[153:154], s[42:43]
	v_mul_f64 v[70:71], v[155:156], s[42:43]
	v_fma_f64 v[147:148], v[58:59], s[6:7], v[147:148]
	v_fma_f64 v[149:150], v[60:61], s[6:7], -v[149:150]
	v_fma_f64 v[161:162], v[58:59], s[18:19], -v[157:158]
	v_fma_f64 v[163:164], v[60:61], s[18:19], v[159:160]
	v_fma_f64 v[58:59], v[58:59], s[18:19], v[157:158]
	v_fma_f64 v[60:61], v[60:61], s[18:19], -v[159:160]
	v_fma_f64 v[157:158], v[50:51], s[6:7], -v[68:69]
	v_fma_f64 v[159:160], v[52:53], s[6:7], v[70:71]
	v_add_f64 v[40:41], v[147:148], v[40:41]
	v_add_f64 v[44:45], v[149:150], v[44:45]
	;; [unrolled: 1-line block ×8, first 2 shown]
	v_mul_f64 v[62:63], v[153:154], s[22:23]
	v_mul_f64 v[88:89], v[155:156], s[22:23]
	;; [unrolled: 1-line block ×4, first 2 shown]
	v_fma_f64 v[68:69], v[50:51], s[6:7], v[68:69]
	v_fma_f64 v[70:71], v[52:53], s[6:7], -v[70:71]
	s_mov_b32 s47, 0x3fe58eea
	s_mov_b32 s46, s34
	v_fma_f64 v[161:162], v[50:51], s[20:21], -v[62:63]
	v_fma_f64 v[163:164], v[52:53], s[20:21], v[88:89]
	v_fma_f64 v[62:63], v[50:51], s[20:21], v[62:63]
	v_fma_f64 v[88:89], v[52:53], s[20:21], -v[88:89]
	v_fma_f64 v[165:166], v[50:51], s[38:39], -v[157:158]
	v_fma_f64 v[167:168], v[52:53], s[38:39], v[159:160]
	v_add_f64 v[64:65], v[68:69], v[64:65]
	v_add_f64 v[66:67], v[70:71], v[66:67]
	;; [unrolled: 1-line block ×8, first 2 shown]
	v_mul_f64 v[92:93], v[153:154], s[48:49]
	v_mul_f64 v[94:95], v[155:156], s[48:49]
	v_fma_f64 v[119:120], v[50:51], s[38:39], v[157:158]
	v_fma_f64 v[137:138], v[52:53], s[38:39], -v[159:160]
	v_mul_f64 v[157:158], v[153:154], s[46:47]
	v_mul_f64 v[159:160], v[155:156], s[46:47]
	v_fma_f64 v[161:162], v[50:51], s[10:11], -v[92:93]
	v_fma_f64 v[163:164], v[52:53], s[10:11], v[94:95]
	v_fma_f64 v[92:93], v[50:51], s[10:11], v[92:93]
	v_fma_f64 v[94:95], v[52:53], s[10:11], -v[94:95]
	v_add_f64 v[107:108], v[119:120], v[107:108]
	v_add_f64 v[109:110], v[137:138], v[109:110]
	v_fma_f64 v[119:120], v[50:51], s[14:15], -v[157:158]
	v_fma_f64 v[137:138], v[52:53], s[14:15], v[159:160]
	v_add_f64 v[127:128], v[161:162], v[127:128]
	v_add_f64 v[129:130], v[163:164], v[129:130]
	;; [unrolled: 1-line block ×4, first 2 shown]
	v_mul_f64 v[111:112], v[153:154], s[26:27]
	v_mul_f64 v[113:114], v[155:156], s[26:27]
	v_add_f64 v[119:120], v[119:120], v[121:122]
	v_add_f64 v[121:122], v[137:138], v[139:140]
	v_mul_f64 v[137:138], v[153:154], s[28:29]
	v_mul_f64 v[139:140], v[155:156], s[28:29]
	v_fma_f64 v[157:158], v[50:51], s[14:15], v[157:158]
	v_fma_f64 v[159:160], v[52:53], s[14:15], -v[159:160]
	v_fma_f64 v[161:162], v[50:51], s[18:19], -v[111:112]
	v_fma_f64 v[163:164], v[52:53], s[18:19], v[113:114]
	v_fma_f64 v[111:112], v[50:51], s[18:19], v[111:112]
	v_fma_f64 v[113:114], v[52:53], s[18:19], -v[113:114]
	v_fma_f64 v[165:166], v[50:51], s[4:5], -v[137:138]
	v_fma_f64 v[167:168], v[52:53], s[4:5], v[139:140]
	v_mul_f64 v[153:154], v[153:154], s[24:25]
	v_mul_f64 v[155:156], v[155:156], s[24:25]
	v_fma_f64 v[137:138], v[50:51], s[4:5], v[137:138]
	v_fma_f64 v[139:140], v[52:53], s[4:5], -v[139:140]
	v_add_f64 v[111:112], v[111:112], v[123:124]
	v_add_f64 v[113:114], v[113:114], v[125:126]
	;; [unrolled: 1-line block ×4, first 2 shown]
	v_add_f64 v[143:144], v[105:106], -v[48:49]
	v_add_f64 v[145:146], v[103:104], -v[46:47]
	v_add_f64 v[46:47], v[103:104], v[46:47]
	v_add_f64 v[48:49], v[105:106], v[48:49]
	;; [unrolled: 1-line block ×4, first 2 shown]
	v_fma_f64 v[157:158], v[50:51], s[30:31], -v[153:154]
	v_fma_f64 v[159:160], v[52:53], s[30:31], v[155:156]
	v_mul_f64 v[103:104], v[143:144], s[28:29]
	v_mul_f64 v[105:106], v[145:146], s[28:29]
	v_fma_f64 v[50:51], v[50:51], s[30:31], v[153:154]
	v_fma_f64 v[52:53], v[52:53], s[30:31], -v[155:156]
	v_add_f64 v[40:41], v[137:138], v[40:41]
	v_add_f64 v[44:45], v[139:140], v[44:45]
	;; [unrolled: 1-line block ×4, first 2 shown]
	v_fma_f64 v[137:138], v[46:47], s[4:5], -v[103:104]
	v_fma_f64 v[139:140], v[48:49], s[4:5], v[105:106]
	v_add_f64 v[50:51], v[50:51], v[54:55]
	v_add_f64 v[52:53], v[52:53], v[56:57]
	v_mul_f64 v[54:55], v[143:144], s[36:37]
	v_mul_f64 v[56:57], v[145:146], s[36:37]
	v_fma_f64 v[103:104], v[46:47], s[4:5], v[103:104]
	v_fma_f64 v[105:106], v[48:49], s[4:5], -v[105:106]
	v_add_f64 v[58:59], v[137:138], v[58:59]
	v_add_f64 v[60:61], v[139:140], v[60:61]
	v_mul_f64 v[137:138], v[143:144], s[48:49]
	v_mul_f64 v[139:140], v[145:146], s[48:49]
	v_fma_f64 v[153:154], v[46:47], s[38:39], -v[54:55]
	v_fma_f64 v[155:156], v[48:49], s[38:39], v[56:57]
	v_fma_f64 v[54:55], v[46:47], s[38:39], v[54:55]
	v_fma_f64 v[56:57], v[48:49], s[38:39], -v[56:57]
	v_add_f64 v[64:65], v[103:104], v[64:65]
	v_add_f64 v[66:67], v[105:106], v[66:67]
	v_fma_f64 v[103:104], v[46:47], s[10:11], -v[137:138]
	v_fma_f64 v[105:106], v[48:49], s[10:11], v[139:140]
	v_add_f64 v[68:69], v[153:154], v[68:69]
	v_add_f64 v[70:71], v[155:156], v[70:71]
	;; [unrolled: 1-line block ×4, first 2 shown]
	v_mul_f64 v[56:57], v[143:144], s[44:45]
	v_mul_f64 v[62:63], v[145:146], s[44:45]
	v_add_f64 v[88:89], v[103:104], v[88:89]
	v_add_f64 v[90:91], v[105:106], v[90:91]
	v_mul_f64 v[103:104], v[143:144], s[42:43]
	v_mul_f64 v[105:106], v[145:146], s[42:43]
	v_fma_f64 v[137:138], v[46:47], s[10:11], v[137:138]
	v_fma_f64 v[139:140], v[48:49], s[10:11], -v[139:140]
	v_fma_f64 v[153:154], v[46:47], s[18:19], -v[56:57]
	v_fma_f64 v[155:156], v[48:49], s[18:19], v[62:63]
	v_fma_f64 v[56:57], v[46:47], s[18:19], v[56:57]
	v_fma_f64 v[62:63], v[48:49], s[18:19], -v[62:63]
	v_fma_f64 v[157:158], v[46:47], s[6:7], -v[103:104]
	v_fma_f64 v[159:160], v[48:49], s[6:7], v[105:106]
	v_add_f64 v[107:108], v[137:138], v[107:108]
	v_add_f64 v[109:110], v[139:140], v[109:110]
	v_fma_f64 v[103:104], v[46:47], s[6:7], v[103:104]
	v_fma_f64 v[105:106], v[48:49], s[6:7], -v[105:106]
	v_add_f64 v[56:57], v[56:57], v[92:93]
	v_add_f64 v[62:63], v[62:63], v[94:95]
	v_add_f64 v[92:93], v[157:158], v[119:120]
	v_add_f64 v[94:95], v[159:160], v[121:122]
	v_mul_f64 v[119:120], v[143:144], s[24:25]
	v_mul_f64 v[121:122], v[145:146], s[24:25]
	;; [unrolled: 1-line block ×4, first 2 shown]
	v_add_f64 v[127:128], v[153:154], v[127:128]
	v_add_f64 v[129:130], v[155:156], v[129:130]
	;; [unrolled: 1-line block ×4, first 2 shown]
	v_fma_f64 v[153:154], v[46:47], s[30:31], -v[119:120]
	v_fma_f64 v[155:156], v[48:49], s[30:31], v[121:122]
	v_fma_f64 v[119:120], v[46:47], s[30:31], v[119:120]
	v_fma_f64 v[121:122], v[48:49], s[30:31], -v[121:122]
	v_fma_f64 v[115:116], v[46:47], s[20:21], -v[137:138]
	v_fma_f64 v[117:118], v[48:49], s[20:21], v[139:140]
	v_fma_f64 v[137:138], v[46:47], s[20:21], v[137:138]
	v_fma_f64 v[139:140], v[48:49], s[20:21], -v[139:140]
	v_add_f64 v[141:142], v[161:162], v[141:142]
	v_add_f64 v[151:152], v[163:164], v[151:152]
	;; [unrolled: 1-line block ×4, first 2 shown]
	v_mul_f64 v[119:120], v[143:144], s[46:47]
	v_mul_f64 v[121:122], v[145:146], s[46:47]
	v_add_f64 v[115:116], v[115:116], v[123:124]
	v_add_f64 v[117:118], v[117:118], v[125:126]
	v_add_f64 v[123:124], v[34:35], -v[38:39]
	v_add_f64 v[125:126], v[32:33], -v[36:37]
	v_add_f64 v[32:33], v[32:33], v[36:37]
	v_add_f64 v[34:35], v[34:35], v[38:39]
	v_fma_f64 v[143:144], v[46:47], s[14:15], -v[119:120]
	v_fma_f64 v[145:146], v[48:49], s[14:15], v[121:122]
	v_fma_f64 v[46:47], v[46:47], s[14:15], v[119:120]
	v_fma_f64 v[48:49], v[48:49], s[14:15], -v[121:122]
	v_mul_f64 v[36:37], v[123:124], s[16:17]
	v_mul_f64 v[38:39], v[125:126], s[16:17]
	v_add_f64 v[40:41], v[137:138], v[40:41]
	v_add_f64 v[44:45], v[139:140], v[44:45]
	;; [unrolled: 1-line block ×6, first 2 shown]
	v_fma_f64 v[137:138], v[32:33], s[10:11], -v[36:37]
	v_fma_f64 v[139:140], v[34:35], s[10:11], v[38:39]
	v_mul_f64 v[50:51], v[123:124], s[50:51]
	v_mul_f64 v[52:53], v[125:126], s[50:51]
	v_fma_f64 v[36:37], v[32:33], s[10:11], v[36:37]
	v_fma_f64 v[38:39], v[34:35], s[10:11], -v[38:39]
	v_add_f64 v[141:142], v[153:154], v[141:142]
	v_add_f64 v[151:152], v[155:156], v[151:152]
	;; [unrolled: 1-line block ×4, first 2 shown]
	v_mul_f64 v[137:138], v[123:124], s[46:47]
	v_mul_f64 v[139:140], v[125:126], s[46:47]
	v_fma_f64 v[143:144], v[32:33], s[30:31], -v[50:51]
	v_fma_f64 v[145:146], v[34:35], s[30:31], v[52:53]
	v_add_f64 v[36:37], v[36:37], v[64:65]
	v_add_f64 v[38:39], v[38:39], v[66:67]
	v_fma_f64 v[50:51], v[32:33], s[30:31], v[50:51]
	v_fma_f64 v[52:53], v[34:35], s[30:31], -v[52:53]
	v_fma_f64 v[64:65], v[32:33], s[14:15], -v[137:138]
	v_fma_f64 v[66:67], v[34:35], s[14:15], v[139:140]
	v_add_f64 v[68:69], v[143:144], v[68:69]
	v_add_f64 v[70:71], v[145:146], v[70:71]
	v_mul_f64 v[143:144], v[123:124], s[42:43]
	v_mul_f64 v[145:146], v[125:126], s[42:43]
	v_add_f64 v[42:43], v[50:51], v[42:43]
	v_add_f64 v[50:51], v[52:53], v[54:55]
	;; [unrolled: 1-line block ×4, first 2 shown]
	s_mov_b32 s43, 0x3fefdd0d
	s_mov_b32 s42, s28
	v_fma_f64 v[88:89], v[32:33], s[6:7], -v[143:144]
	v_fma_f64 v[90:91], v[34:35], s[6:7], v[145:146]
	v_fma_f64 v[64:65], v[32:33], s[14:15], v[137:138]
	v_fma_f64 v[66:67], v[34:35], s[14:15], -v[139:140]
	v_mul_f64 v[137:138], v[123:124], s[36:37]
	v_mul_f64 v[139:140], v[125:126], s[36:37]
	v_fma_f64 v[143:144], v[32:33], s[6:7], v[143:144]
	v_fma_f64 v[145:146], v[34:35], s[6:7], -v[145:146]
	v_add_f64 v[88:89], v[88:89], v[127:128]
	v_add_f64 v[90:91], v[90:91], v[129:130]
	v_mul_f64 v[127:128], v[123:124], s[42:43]
	v_mul_f64 v[129:130], v[125:126], s[42:43]
	v_add_f64 v[64:65], v[64:65], v[107:108]
	v_add_f64 v[66:67], v[66:67], v[109:110]
	v_fma_f64 v[107:108], v[32:33], s[38:39], -v[137:138]
	v_fma_f64 v[109:110], v[34:35], s[38:39], v[139:140]
	v_add_f64 v[56:57], v[143:144], v[56:57]
	v_add_f64 v[62:63], v[145:146], v[62:63]
	v_fma_f64 v[143:144], v[32:33], s[4:5], -v[127:128]
	v_fma_f64 v[145:146], v[34:35], s[4:5], v[129:130]
	v_fma_f64 v[127:128], v[32:33], s[4:5], v[127:128]
	v_fma_f64 v[129:130], v[34:35], s[4:5], -v[129:130]
	v_add_f64 v[92:93], v[107:108], v[92:93]
	v_add_f64 v[94:95], v[109:110], v[94:95]
	v_mul_f64 v[107:108], v[123:124], s[26:27]
	v_mul_f64 v[109:110], v[125:126], s[26:27]
	v_fma_f64 v[137:138], v[32:33], s[38:39], v[137:138]
	v_mul_f64 v[123:124], v[123:124], s[22:23]
	v_add_f64 v[111:112], v[127:128], v[111:112]
	v_add_f64 v[113:114], v[129:130], v[113:114]
	v_add_f64 v[127:128], v[26:27], -v[30:31]
	v_add_f64 v[129:130], v[24:25], -v[28:29]
	v_fma_f64 v[147:148], v[32:33], s[18:19], -v[107:108]
	v_fma_f64 v[149:150], v[34:35], s[18:19], v[109:110]
	v_mul_f64 v[125:126], v[125:126], s[22:23]
	v_fma_f64 v[107:108], v[32:33], s[18:19], v[107:108]
	v_fma_f64 v[109:110], v[34:35], s[18:19], -v[109:110]
	v_add_f64 v[24:25], v[24:25], v[28:29]
	v_add_f64 v[26:27], v[26:27], v[30:31]
	v_mul_f64 v[28:29], v[127:128], s[22:23]
	v_mul_f64 v[30:31], v[129:130], s[22:23]
	v_fma_f64 v[139:140], v[34:35], s[38:39], -v[139:140]
	v_add_f64 v[103:104], v[137:138], v[103:104]
	v_add_f64 v[137:138], v[143:144], v[141:142]
	v_fma_f64 v[141:142], v[32:33], s[20:21], -v[123:124]
	v_fma_f64 v[143:144], v[34:35], s[20:21], v[125:126]
	v_fma_f64 v[32:33], v[32:33], s[20:21], v[123:124]
	v_fma_f64 v[34:35], v[34:35], s[20:21], -v[125:126]
	v_add_f64 v[40:41], v[107:108], v[40:41]
	v_add_f64 v[44:45], v[109:110], v[44:45]
	v_fma_f64 v[107:108], v[24:25], s[20:21], -v[28:29]
	v_fma_f64 v[109:110], v[26:27], s[20:21], v[30:31]
	v_fma_f64 v[28:29], v[24:25], s[20:21], v[28:29]
	v_fma_f64 v[30:31], v[26:27], s[20:21], -v[30:31]
	v_add_f64 v[32:33], v[32:33], v[46:47]
	v_add_f64 v[34:35], v[34:35], v[48:49]
	v_mul_f64 v[46:47], v[127:128], s[48:49]
	v_mul_f64 v[48:49], v[129:130], s[48:49]
	v_add_f64 v[58:59], v[107:108], v[58:59]
	v_add_f64 v[60:61], v[109:110], v[60:61]
	v_mul_f64 v[107:108], v[127:128], s[26:27]
	v_mul_f64 v[109:110], v[129:130], s[26:27]
	v_add_f64 v[28:29], v[28:29], v[36:37]
	v_add_f64 v[30:31], v[30:31], v[38:39]
	v_fma_f64 v[123:124], v[24:25], s[10:11], -v[46:47]
	v_fma_f64 v[125:126], v[26:27], s[10:11], v[48:49]
	v_fma_f64 v[46:47], v[24:25], s[10:11], v[46:47]
	v_fma_f64 v[48:49], v[26:27], s[10:11], -v[48:49]
	v_fma_f64 v[36:37], v[24:25], s[18:19], -v[107:108]
	v_fma_f64 v[38:39], v[26:27], s[18:19], v[109:110]
	v_add_f64 v[115:116], v[147:148], v[115:116]
	v_add_f64 v[117:118], v[149:150], v[117:118]
	;; [unrolled: 1-line block ×6, first 2 shown]
	v_mul_f64 v[48:49], v[127:128], s[24:25]
	v_mul_f64 v[50:51], v[129:130], s[24:25]
	v_add_f64 v[36:37], v[36:37], v[52:53]
	v_add_f64 v[38:39], v[38:39], v[54:55]
	v_fma_f64 v[52:53], v[24:25], s[18:19], v[107:108]
	v_fma_f64 v[54:55], v[26:27], s[18:19], -v[109:110]
	v_mul_f64 v[107:108], v[127:128], s[42:43]
	v_mul_f64 v[109:110], v[129:130], s[42:43]
	v_fma_f64 v[123:124], v[24:25], s[30:31], -v[48:49]
	v_fma_f64 v[125:126], v[26:27], s[30:31], v[50:51]
	v_fma_f64 v[48:49], v[24:25], s[30:31], v[48:49]
	v_fma_f64 v[50:51], v[26:27], s[30:31], -v[50:51]
	v_add_f64 v[52:53], v[52:53], v[64:65]
	v_add_f64 v[54:55], v[54:55], v[66:67]
	v_fma_f64 v[64:65], v[24:25], s[4:5], -v[107:108]
	v_fma_f64 v[66:67], v[26:27], s[4:5], v[109:110]
	v_add_f64 v[119:120], v[141:142], v[119:120]
	v_add_f64 v[121:122], v[143:144], v[121:122]
	;; [unrolled: 1-line block ×4, first 2 shown]
	v_mul_f64 v[56:57], v[127:128], s[34:35]
	v_mul_f64 v[62:63], v[129:130], s[34:35]
	v_add_f64 v[64:65], v[64:65], v[92:93]
	v_add_f64 v[66:67], v[66:67], v[94:95]
	v_mul_f64 v[92:93], v[127:128], s[36:37]
	v_mul_f64 v[94:95], v[129:130], s[36:37]
	v_add_f64 v[88:89], v[123:124], v[88:89]
	v_add_f64 v[90:91], v[125:126], v[90:91]
	v_fma_f64 v[123:124], v[24:25], s[14:15], -v[56:57]
	v_fma_f64 v[125:126], v[26:27], s[14:15], v[62:63]
	v_fma_f64 v[56:57], v[24:25], s[14:15], v[56:57]
	v_fma_f64 v[62:63], v[26:27], s[14:15], -v[62:63]
	v_fma_f64 v[141:142], v[24:25], s[38:39], -v[92:93]
	v_fma_f64 v[143:144], v[26:27], s[38:39], v[94:95]
	v_add_f64 v[105:106], v[139:140], v[105:106]
	v_add_f64 v[139:140], v[145:146], v[151:152]
	v_fma_f64 v[107:108], v[24:25], s[4:5], v[107:108]
	v_fma_f64 v[109:110], v[26:27], s[4:5], -v[109:110]
	v_add_f64 v[56:57], v[56:57], v[111:112]
	v_add_f64 v[62:63], v[62:63], v[113:114]
	;; [unrolled: 1-line block ×4, first 2 shown]
	v_add_f64 v[115:116], v[18:19], -v[22:23]
	v_add_f64 v[117:118], v[16:17], -v[20:21]
	v_add_f64 v[103:104], v[107:108], v[103:104]
	v_add_f64 v[105:106], v[109:110], v[105:106]
	;; [unrolled: 1-line block ×4, first 2 shown]
	v_mul_f64 v[123:124], v[127:128], s[40:41]
	v_mul_f64 v[125:126], v[129:130], s[40:41]
	v_fma_f64 v[92:93], v[24:25], s[38:39], v[92:93]
	v_fma_f64 v[94:95], v[26:27], s[38:39], -v[94:95]
	v_add_f64 v[16:17], v[16:17], v[20:21]
	v_add_f64 v[18:19], v[18:19], v[22:23]
	v_mul_f64 v[20:21], v[115:116], s[24:25]
	v_mul_f64 v[22:23], v[117:118], s[24:25]
	v_fma_f64 v[127:128], v[24:25], s[6:7], -v[123:124]
	v_fma_f64 v[129:130], v[26:27], s[6:7], v[125:126]
	v_fma_f64 v[24:25], v[24:25], s[6:7], v[123:124]
	v_fma_f64 v[26:27], v[26:27], s[6:7], -v[125:126]
	v_add_f64 v[40:41], v[92:93], v[40:41]
	v_add_f64 v[44:45], v[94:95], v[44:45]
	v_fma_f64 v[92:93], v[16:17], s[30:31], -v[20:21]
	v_fma_f64 v[94:95], v[18:19], s[30:31], v[22:23]
	v_fma_f64 v[20:21], v[16:17], s[30:31], v[20:21]
	v_fma_f64 v[22:23], v[18:19], s[30:31], -v[22:23]
	v_add_f64 v[24:25], v[24:25], v[32:33]
	v_add_f64 v[26:27], v[26:27], v[34:35]
	v_mul_f64 v[32:33], v[115:116], s[40:41]
	v_mul_f64 v[34:35], v[117:118], s[40:41]
	v_add_f64 v[58:59], v[92:93], v[58:59]
	v_add_f64 v[60:61], v[94:95], v[60:61]
	v_mul_f64 v[92:93], v[115:116], s[28:29]
	v_mul_f64 v[94:95], v[117:118], s[28:29]
	v_add_f64 v[20:21], v[20:21], v[28:29]
	v_add_f64 v[22:23], v[22:23], v[30:31]
	v_fma_f64 v[123:124], v[16:17], s[6:7], -v[32:33]
	v_fma_f64 v[125:126], v[18:19], s[6:7], v[34:35]
	v_fma_f64 v[32:33], v[16:17], s[6:7], v[32:33]
	v_fma_f64 v[34:35], v[18:19], s[6:7], -v[34:35]
	v_fma_f64 v[28:29], v[16:17], s[4:5], -v[92:93]
	v_fma_f64 v[30:31], v[18:19], s[4:5], v[94:95]
	v_add_f64 v[119:120], v[127:128], v[119:120]
	v_add_f64 v[121:122], v[129:130], v[121:122]
	v_add_f64 v[68:69], v[123:124], v[68:69]
	v_add_f64 v[70:71], v[125:126], v[70:71]
	v_add_f64 v[32:33], v[32:33], v[42:43]
	v_add_f64 v[34:35], v[34:35], v[46:47]
	v_mul_f64 v[42:43], v[115:116], s[52:53]
	v_mul_f64 v[46:47], v[117:118], s[52:53]
	v_add_f64 v[28:29], v[28:29], v[36:37]
	v_add_f64 v[30:31], v[30:31], v[38:39]
	v_fma_f64 v[36:37], v[16:17], s[4:5], v[92:93]
	v_fma_f64 v[38:39], v[18:19], s[4:5], -v[94:95]
	v_mul_f64 v[92:93], v[115:116], s[26:27]
	v_mul_f64 v[94:95], v[117:118], s[26:27]
	v_fma_f64 v[123:124], v[16:17], s[20:21], -v[42:43]
	v_fma_f64 v[125:126], v[18:19], s[20:21], v[46:47]
	v_fma_f64 v[42:43], v[16:17], s[20:21], v[42:43]
	v_fma_f64 v[46:47], v[18:19], s[20:21], -v[46:47]
	v_add_f64 v[36:37], v[36:37], v[52:53]
	v_add_f64 v[38:39], v[38:39], v[54:55]
	v_fma_f64 v[52:53], v[16:17], s[18:19], -v[92:93]
	v_fma_f64 v[54:55], v[18:19], s[18:19], v[94:95]
	v_add_f64 v[88:89], v[123:124], v[88:89]
	v_add_f64 v[90:91], v[125:126], v[90:91]
	;; [unrolled: 1-line block ×4, first 2 shown]
	v_mul_f64 v[48:49], v[115:116], s[36:37]
	v_mul_f64 v[50:51], v[117:118], s[36:37]
	v_add_f64 v[52:53], v[52:53], v[64:65]
	v_add_f64 v[54:55], v[54:55], v[66:67]
	v_fma_f64 v[64:65], v[16:17], s[18:19], v[92:93]
	v_fma_f64 v[66:67], v[18:19], s[18:19], -v[94:95]
	v_mul_f64 v[92:93], v[115:116], s[46:47]
	v_mul_f64 v[94:95], v[117:118], s[46:47]
	v_fma_f64 v[123:124], v[16:17], s[38:39], -v[48:49]
	v_fma_f64 v[125:126], v[18:19], s[38:39], v[50:51]
	v_fma_f64 v[48:49], v[16:17], s[38:39], v[48:49]
	v_fma_f64 v[50:51], v[18:19], s[38:39], -v[50:51]
	v_add_f64 v[64:65], v[64:65], v[103:104]
	v_add_f64 v[66:67], v[66:67], v[105:106]
	v_fma_f64 v[103:104], v[16:17], s[14:15], -v[92:93]
	v_fma_f64 v[105:106], v[18:19], s[14:15], v[94:95]
	v_add_f64 v[107:108], v[123:124], v[107:108]
	v_add_f64 v[109:110], v[125:126], v[109:110]
	;; [unrolled: 1-line block ×4, first 2 shown]
	v_mul_f64 v[48:49], v[115:116], s[16:17]
	v_mul_f64 v[50:51], v[117:118], s[16:17]
	v_add_f64 v[103:104], v[103:104], v[111:112]
	v_add_f64 v[105:106], v[105:106], v[113:114]
	v_add_f64 v[111:112], v[10:11], -v[14:15]
	v_add_f64 v[113:114], v[8:9], -v[12:13]
	v_fma_f64 v[92:93], v[16:17], s[14:15], v[92:93]
	v_fma_f64 v[94:95], v[18:19], s[14:15], -v[94:95]
	v_fma_f64 v[115:116], v[16:17], s[10:11], -v[48:49]
	v_fma_f64 v[117:118], v[18:19], s[10:11], v[50:51]
	v_add_f64 v[123:124], v[8:9], v[12:13]
	v_add_f64 v[125:126], v[10:11], v[14:15]
	v_mul_f64 v[8:9], v[111:112], s[36:37]
	v_mul_f64 v[10:11], v[113:114], s[36:37]
	v_fma_f64 v[12:13], v[16:17], s[10:11], v[48:49]
	v_fma_f64 v[14:15], v[18:19], s[10:11], -v[50:51]
	v_add_f64 v[92:93], v[92:93], v[40:41]
	v_add_f64 v[94:95], v[94:95], v[44:45]
	v_add_f64 v[115:116], v[115:116], v[119:120]
	v_add_f64 v[117:118], v[117:118], v[121:122]
	v_fma_f64 v[16:17], v[123:124], s[38:39], -v[8:9]
	v_fma_f64 v[18:19], v[125:126], s[38:39], v[10:11]
	v_mul_f64 v[40:41], v[111:112], s[44:45]
	v_mul_f64 v[44:45], v[113:114], s[44:45]
	v_fma_f64 v[8:9], v[123:124], s[38:39], v[8:9]
	v_fma_f64 v[10:11], v[125:126], s[38:39], -v[10:11]
	v_add_f64 v[119:120], v[12:13], v[24:25]
	v_add_f64 v[121:122], v[14:15], v[26:27]
	v_mul_f64 v[24:25], v[111:112], s[24:25]
	v_mul_f64 v[26:27], v[113:114], s[24:25]
	v_add_f64 v[12:13], v[16:17], v[58:59]
	v_add_f64 v[14:15], v[18:19], v[60:61]
	v_fma_f64 v[16:17], v[123:124], s[18:19], -v[40:41]
	v_fma_f64 v[18:19], v[125:126], s[18:19], v[44:45]
	v_add_f64 v[8:9], v[8:9], v[20:21]
	v_add_f64 v[10:11], v[10:11], v[22:23]
	v_fma_f64 v[20:21], v[123:124], s[18:19], v[40:41]
	v_fma_f64 v[22:23], v[125:126], s[18:19], -v[44:45]
	v_mul_f64 v[40:41], v[111:112], s[46:47]
	v_mul_f64 v[44:45], v[113:114], s[46:47]
	v_fma_f64 v[48:49], v[123:124], s[30:31], -v[24:25]
	v_fma_f64 v[50:51], v[125:126], s[30:31], v[26:27]
	v_add_f64 v[16:17], v[16:17], v[68:69]
	v_add_f64 v[18:19], v[18:19], v[70:71]
	;; [unrolled: 1-line block ×4, first 2 shown]
	v_fma_f64 v[32:33], v[123:124], s[30:31], v[24:25]
	v_fma_f64 v[34:35], v[125:126], s[30:31], -v[26:27]
	v_fma_f64 v[58:59], v[123:124], s[14:15], -v[40:41]
	v_fma_f64 v[60:61], v[125:126], s[14:15], v[44:45]
	v_add_f64 v[24:25], v[48:49], v[28:29]
	v_add_f64 v[26:27], v[50:51], v[30:31]
	v_mul_f64 v[48:49], v[111:112], s[22:23]
	v_mul_f64 v[50:51], v[113:114], s[22:23]
	v_add_f64 v[28:29], v[32:33], v[36:37]
	v_add_f64 v[30:31], v[34:35], v[38:39]
	;; [unrolled: 1-line block ×4, first 2 shown]
	v_fma_f64 v[36:37], v[123:124], s[14:15], v[40:41]
	v_fma_f64 v[38:39], v[125:126], s[14:15], -v[44:45]
	v_fma_f64 v[40:41], v[123:124], s[20:21], -v[48:49]
	v_fma_f64 v[44:45], v[125:126], s[20:21], v[50:51]
	v_mul_f64 v[58:59], v[111:112], s[40:41]
	v_mul_f64 v[60:61], v[113:114], s[40:41]
	v_fma_f64 v[48:49], v[123:124], s[20:21], v[48:49]
	v_fma_f64 v[50:51], v[125:126], s[20:21], -v[50:51]
	v_add_f64 v[36:37], v[36:37], v[42:43]
	v_add_f64 v[38:39], v[38:39], v[46:47]
	v_add_f64 v[40:41], v[40:41], v[52:53]
	v_add_f64 v[42:43], v[44:45], v[54:55]
	v_fma_f64 v[52:53], v[123:124], s[6:7], -v[58:59]
	v_fma_f64 v[54:55], v[125:126], s[6:7], v[60:61]
	v_add_f64 v[44:45], v[48:49], v[64:65]
	v_add_f64 v[46:47], v[50:51], v[66:67]
	v_fma_f64 v[58:59], v[123:124], s[6:7], v[58:59]
	v_fma_f64 v[60:61], v[125:126], s[6:7], -v[60:61]
	v_mul_f64 v[64:65], v[111:112], s[16:17]
	v_mul_f64 v[66:67], v[113:114], s[16:17]
	;; [unrolled: 1-line block ×4, first 2 shown]
	v_add_f64 v[48:49], v[52:53], v[107:108]
	v_add_f64 v[50:51], v[54:55], v[109:110]
	;; [unrolled: 1-line block ×4, first 2 shown]
	v_fma_f64 v[56:57], v[123:124], s[10:11], -v[64:65]
	v_fma_f64 v[58:59], v[125:126], s[10:11], v[66:67]
	v_fma_f64 v[60:61], v[123:124], s[10:11], v[64:65]
	v_fma_f64 v[62:63], v[125:126], s[10:11], -v[66:67]
	v_fma_f64 v[64:65], v[123:124], s[4:5], -v[68:69]
	v_fma_f64 v[66:67], v[125:126], s[4:5], v[70:71]
	v_fma_f64 v[68:69], v[123:124], s[4:5], v[68:69]
	v_fma_f64 v[70:71], v[125:126], s[4:5], -v[70:71]
	v_add_f64 v[56:57], v[56:57], v[103:104]
	v_add_f64 v[58:59], v[58:59], v[105:106]
	;; [unrolled: 1-line block ×8, first 2 shown]
	ds_write_b128 v84, v[4:7]
	ds_write_b128 v84, v[12:15] offset:544
	ds_write_b128 v84, v[16:19] offset:1088
	;; [unrolled: 1-line block ×16, first 2 shown]
	s_waitcnt lgkmcnt(0)
	s_barrier
	ds_read_b128 v[28:31], v132
	ds_read_b128 v[56:59], v135 offset:9248
	ds_read_b128 v[60:63], v135 offset:10336
	;; [unrolled: 1-line block ×3, first 2 shown]
	ds_read_b128 v[32:35], v101
	ds_read_b128 v[24:27], v100
	ds_read_b128 v[68:71], v135 offset:12512
	ds_read_b128 v[40:43], v135 offset:13600
	ds_read_b128 v[16:19], v99
	ds_read_b128 v[12:15], v98
	ds_read_b128 v[44:47], v135 offset:14688
	ds_read_b128 v[48:51], v135 offset:15776
	ds_read_b128 v[20:23], v97
	ds_read_b128 v[4:7], v96
	ds_read_b128 v[36:39], v102
	ds_read_b128 v[52:55], v135 offset:16864
	s_and_saveexec_b64 s[4:5], s[2:3]
	s_cbranch_execz .LBB0_18
; %bb.17:
	ds_read_b128 v[8:11], v73
	ds_read_b128 v[0:3], v135 offset:17952
	v_mov_b32_e32 v85, v76
.LBB0_18:
	s_or_b64 exec, exec, s[4:5]
	v_mov_b32_e32 v73, v87
	v_lshlrev_b64 v[88:89], 4, v[72:73]
	v_mov_b32_e32 v73, s9
	v_add_co_u32_e32 v84, vcc, s8, v88
	v_addc_co_u32_e32 v86, vcc, v73, v89, vcc
	s_movk_i32 s4, 0x2000
	v_add_co_u32_e32 v90, vcc, s4, v84
	v_mov_b32_e32 v84, v87
	v_lshlrev_b64 v[94:95], 4, v[83:84]
	v_addc_co_u32_e32 v91, vcc, 0, v86, vcc
	v_add_co_u32_e32 v83, vcc, s8, v94
	v_addc_co_u32_e32 v84, vcc, v73, v95, vcc
	v_add_co_u32_e32 v83, vcc, s4, v83
	v_addc_co_u32_e32 v84, vcc, 0, v84, vcc
	global_load_dwordx4 v[103:106], v[90:91], off offset:784
	global_load_dwordx4 v[107:110], v[83:84], off offset:784
	v_mov_b32_e32 v83, v87
	v_lshlrev_b64 v[92:93], 4, v[82:83]
	v_add_co_u32_e32 v82, vcc, s8, v92
	v_addc_co_u32_e32 v84, vcc, v73, v93, vcc
	v_add_co_u32_e32 v83, vcc, s4, v82
	v_mov_b32_e32 v82, v87
	v_lshlrev_b64 v[90:91], 4, v[81:82]
	v_addc_co_u32_e32 v84, vcc, 0, v84, vcc
	v_add_co_u32_e32 v81, vcc, s8, v90
	v_addc_co_u32_e32 v82, vcc, v73, v91, vcc
	v_add_co_u32_e32 v81, vcc, s4, v81
	v_addc_co_u32_e32 v82, vcc, 0, v82, vcc
	global_load_dwordx4 v[111:114], v[83:84], off offset:784
	global_load_dwordx4 v[115:118], v[81:82], off offset:784
	v_mov_b32_e32 v81, v87
	v_lshlrev_b64 v[83:84], 4, v[80:81]
	v_add_co_u32_e32 v80, vcc, s8, v83
	v_addc_co_u32_e32 v81, vcc, v73, v84, vcc
	v_add_co_u32_e32 v119, vcc, s4, v80
	v_mov_b32_e32 v80, v87
	v_addc_co_u32_e32 v120, vcc, 0, v81, vcc
	v_lshlrev_b64 v[81:82], 4, v[79:80]
	v_add_co_u32_e32 v79, vcc, s8, v81
	v_addc_co_u32_e32 v80, vcc, v73, v82, vcc
	v_add_co_u32_e32 v79, vcc, s4, v79
	v_addc_co_u32_e32 v80, vcc, 0, v80, vcc
	global_load_dwordx4 v[119:122], v[119:120], off offset:784
	s_nop 0
	global_load_dwordx4 v[123:126], v[79:80], off offset:784
	v_mov_b32_e32 v79, v87
	v_lshlrev_b64 v[79:80], 4, v[78:79]
	v_add_co_u32_e32 v78, vcc, s8, v79
	v_addc_co_u32_e32 v86, vcc, v73, v80, vcc
	v_add_co_u32_e32 v127, vcc, s4, v78
	v_mov_b32_e32 v78, v87
	v_lshlrev_b64 v[77:78], 4, v[77:78]
	v_addc_co_u32_e32 v128, vcc, 0, v86, vcc
	v_add_co_u32_e32 v86, vcc, s8, v77
	v_addc_co_u32_e32 v73, vcc, v73, v78, vcc
	v_add_co_u32_e32 v86, vcc, s4, v86
	v_addc_co_u32_e32 v87, vcc, 0, v73, vcc
	global_load_dwordx4 v[127:130], v[127:128], off offset:784
	s_waitcnt vmcnt(5) lgkmcnt(13)
	v_mul_f64 v[140:141], v[62:63], v[109:110]
	global_load_dwordx4 v[136:139], v[86:87], off offset:784
	v_mul_f64 v[86:87], v[58:59], v[105:106]
	v_mul_f64 v[105:106], v[56:57], v[105:106]
	;; [unrolled: 1-line block ×3, first 2 shown]
	s_waitcnt vmcnt(0) lgkmcnt(0)
	s_barrier
	v_fma_f64 v[60:61], v[60:61], v[107:108], -v[140:141]
	v_fma_f64 v[56:57], v[56:57], v[103:104], -v[86:87]
	v_fma_f64 v[58:59], v[58:59], v[103:104], v[105:106]
	v_fma_f64 v[62:63], v[62:63], v[107:108], v[109:110]
	v_mul_f64 v[142:143], v[66:67], v[113:114]
	v_mul_f64 v[113:114], v[64:65], v[113:114]
	;; [unrolled: 1-line block ×4, first 2 shown]
	v_fma_f64 v[64:65], v[64:65], v[111:112], -v[142:143]
	v_fma_f64 v[66:67], v[66:67], v[111:112], v[113:114]
	v_fma_f64 v[68:69], v[68:69], v[115:116], -v[144:145]
	v_fma_f64 v[70:71], v[70:71], v[115:116], v[117:118]
	v_mul_f64 v[86:87], v[42:43], v[121:122]
	v_mul_f64 v[103:104], v[40:41], v[121:122]
	v_mul_f64 v[105:106], v[46:47], v[125:126]
	v_mul_f64 v[107:108], v[44:45], v[125:126]
	v_fma_f64 v[86:87], v[40:41], v[119:120], -v[86:87]
	v_fma_f64 v[103:104], v[42:43], v[119:120], v[103:104]
	v_fma_f64 v[105:106], v[44:45], v[123:124], -v[105:106]
	v_fma_f64 v[107:108], v[46:47], v[123:124], v[107:108]
	v_add_f64 v[40:41], v[28:29], -v[56:57]
	v_add_f64 v[42:43], v[30:31], -v[58:59]
	;; [unrolled: 1-line block ×8, first 2 shown]
	v_fma_f64 v[28:29], v[28:29], 2.0, -v[40:41]
	v_fma_f64 v[30:31], v[30:31], 2.0, -v[42:43]
	v_fma_f64 v[36:37], v[36:37], 2.0, -v[44:45]
	v_mul_f64 v[109:110], v[50:51], v[129:130]
	v_mul_f64 v[111:112], v[48:49], v[129:130]
	v_fma_f64 v[38:39], v[38:39], 2.0, -v[46:47]
	v_fma_f64 v[16:17], v[16:17], 2.0, -v[56:57]
	;; [unrolled: 1-line block ×5, first 2 shown]
	v_fma_f64 v[109:110], v[48:49], v[127:128], -v[109:110]
	v_fma_f64 v[111:112], v[50:51], v[127:128], v[111:112]
	v_add_f64 v[48:49], v[32:33], -v[64:65]
	v_add_f64 v[50:51], v[34:35], -v[66:67]
	v_mul_f64 v[113:114], v[54:55], v[138:139]
	v_mul_f64 v[115:116], v[52:53], v[138:139]
	v_add_f64 v[64:65], v[20:21], -v[109:110]
	v_add_f64 v[66:67], v[22:23], -v[111:112]
	v_fma_f64 v[32:33], v[32:33], 2.0, -v[48:49]
	v_fma_f64 v[34:35], v[34:35], 2.0, -v[50:51]
	v_fma_f64 v[113:114], v[52:53], v[136:137], -v[113:114]
	v_fma_f64 v[115:116], v[54:55], v[136:137], v[115:116]
	v_add_f64 v[52:53], v[24:25], -v[68:69]
	v_add_f64 v[54:55], v[26:27], -v[70:71]
	v_fma_f64 v[20:21], v[20:21], 2.0, -v[64:65]
	v_fma_f64 v[22:23], v[22:23], 2.0, -v[66:67]
	v_add_f64 v[68:69], v[4:5], -v[113:114]
	v_add_f64 v[70:71], v[6:7], -v[115:116]
	v_fma_f64 v[24:25], v[24:25], 2.0, -v[52:53]
	v_fma_f64 v[26:27], v[26:27], 2.0, -v[54:55]
	;; [unrolled: 1-line block ×4, first 2 shown]
	ds_write_b128 v135, v[28:31]
	ds_write_b128 v135, v[40:43] offset:9248
	ds_write_b128 v102, v[36:39]
	ds_write_b128 v102, v[44:47] offset:9248
	;; [unrolled: 2-line block ×8, first 2 shown]
	s_and_saveexec_b64 s[4:5], s[2:3]
	s_cbranch_execz .LBB0_20
; %bb.19:
	v_mov_b32_e32 v86, 0
	v_lshlrev_b64 v[4:5], 4, v[85:86]
	v_mov_b32_e32 v6, s9
	v_add_co_u32_e32 v4, vcc, s8, v4
	v_addc_co_u32_e32 v5, vcc, v6, v5, vcc
	v_add_co_u32_e32 v4, vcc, 0x2000, v4
	v_addc_co_u32_e32 v5, vcc, 0, v5, vcc
	global_load_dwordx4 v[4:7], v[4:5], off offset:784
	s_waitcnt vmcnt(0)
	v_mul_f64 v[12:13], v[0:1], v[6:7]
	v_mul_f64 v[6:7], v[2:3], v[6:7]
	v_fma_f64 v[2:3], v[2:3], v[4:5], v[12:13]
	v_fma_f64 v[0:1], v[0:1], v[4:5], -v[6:7]
	v_add_f64 v[2:3], v[10:11], -v[2:3]
	v_add_f64 v[0:1], v[8:9], -v[0:1]
	v_fma_f64 v[6:7], v[10:11], 2.0, -v[2:3]
	v_fma_f64 v[4:5], v[8:9], 2.0, -v[0:1]
	ds_write_b128 v135, v[4:7] offset:8704
	ds_write_b128 v135, v[0:3] offset:17952
.LBB0_20:
	s_or_b64 exec, exec, s[4:5]
	s_waitcnt lgkmcnt(0)
	s_barrier
	ds_read_b128 v[8:11], v132
	s_add_u32 s6, s8, 0x4730
	s_addc_u32 s7, s9, 0
	v_sub_u32_e32 v12, v133, v134
	v_cmp_ne_u32_e32 vcc, 0, v72
                                        ; implicit-def: $vgpr6_vgpr7
                                        ; implicit-def: $vgpr2_vgpr3
	s_and_saveexec_b64 s[4:5], vcc
	s_xor_b64 s[4:5], exec, s[4:5]
	s_cbranch_execz .LBB0_22
; %bb.21:
	v_mov_b32_e32 v1, s7
	v_add_co_u32_e32 v0, vcc, s6, v88
	v_addc_co_u32_e32 v1, vcc, v1, v89, vcc
	global_load_dwordx4 v[13:16], v[0:1], off
	ds_read_b128 v[0:3], v12 offset:18496
	s_waitcnt lgkmcnt(0)
	v_add_f64 v[4:5], v[8:9], -v[0:1]
	v_add_f64 v[6:7], v[10:11], v[2:3]
	v_add_f64 v[2:3], v[10:11], -v[2:3]
	v_add_f64 v[0:1], v[8:9], v[0:1]
	v_mul_f64 v[10:11], v[4:5], 0.5
	v_mul_f64 v[4:5], v[6:7], 0.5
	;; [unrolled: 1-line block ×3, first 2 shown]
	s_waitcnt vmcnt(0)
	v_mul_f64 v[6:7], v[10:11], v[15:16]
	v_fma_f64 v[8:9], v[4:5], v[15:16], v[2:3]
	v_fma_f64 v[15:16], v[4:5], v[15:16], -v[2:3]
	v_fma_f64 v[17:18], v[0:1], 0.5, v[6:7]
	v_fma_f64 v[6:7], v[0:1], 0.5, -v[6:7]
	v_fma_f64 v[2:3], -v[13:14], v[10:11], v[8:9]
                                        ; implicit-def: $vgpr8_vgpr9
	v_fma_f64 v[0:1], v[4:5], v[13:14], v[17:18]
	v_fma_f64 v[4:5], -v[4:5], v[13:14], v[6:7]
	v_fma_f64 v[6:7], -v[13:14], v[10:11], v[15:16]
.LBB0_22:
	s_andn2_saveexec_b64 s[4:5], s[4:5]
	s_cbranch_execz .LBB0_24
; %bb.23:
	s_waitcnt lgkmcnt(0)
	v_add_f64 v[0:1], v[8:9], v[10:11]
	ds_read_b64 v[6:7], v133 offset:9256
	v_add_f64 v[4:5], v[8:9], -v[10:11]
	v_mov_b32_e32 v2, 0
	v_mov_b32_e32 v3, 0
	s_waitcnt lgkmcnt(0)
	v_xor_b32_e32 v7, 0x80000000, v7
	ds_write_b64 v133, v[6:7] offset:9256
	v_mov_b32_e32 v7, v3
	v_mov_b32_e32 v6, v2
.LBB0_24:
	s_or_b64 exec, exec, s[4:5]
	s_waitcnt lgkmcnt(0)
	v_mov_b32_e32 v9, s7
	v_add_co_u32_e32 v8, vcc, s6, v94
	v_addc_co_u32_e32 v9, vcc, v9, v95, vcc
	global_load_dwordx4 v[8:11], v[8:9], off
	v_mov_b32_e32 v14, s7
	v_add_co_u32_e32 v13, vcc, s6, v92
	v_addc_co_u32_e32 v14, vcc, v14, v93, vcc
	global_load_dwordx4 v[13:16], v[13:14], off
	ds_write_b128 v132, v[0:3]
	ds_write_b128 v12, v[4:7] offset:18496
	ds_read_b128 v[0:3], v102
	ds_read_b128 v[4:7], v12 offset:17408
	v_mov_b32_e32 v25, s7
	s_waitcnt lgkmcnt(0)
	v_add_f64 v[17:18], v[0:1], -v[4:5]
	v_add_f64 v[19:20], v[2:3], v[6:7]
	v_add_f64 v[2:3], v[2:3], -v[6:7]
	v_add_f64 v[0:1], v[0:1], v[4:5]
	v_mul_f64 v[17:18], v[17:18], 0.5
	v_mul_f64 v[19:20], v[19:20], 0.5
	v_mul_f64 v[2:3], v[2:3], 0.5
	s_waitcnt vmcnt(1)
	v_mul_f64 v[4:5], v[17:18], v[10:11]
	v_fma_f64 v[6:7], v[19:20], v[10:11], v[2:3]
	v_fma_f64 v[10:11], v[19:20], v[10:11], -v[2:3]
	v_fma_f64 v[21:22], v[0:1], 0.5, v[4:5]
	v_fma_f64 v[23:24], v[0:1], 0.5, -v[4:5]
	v_add_co_u32_e32 v0, vcc, s6, v90
	v_addc_co_u32_e32 v1, vcc, v25, v91, vcc
	global_load_dwordx4 v[0:3], v[0:1], off
	v_fma_f64 v[6:7], -v[8:9], v[17:18], v[6:7]
	v_fma_f64 v[4:5], v[19:20], v[8:9], v[21:22]
	v_fma_f64 v[10:11], -v[8:9], v[17:18], v[10:11]
	v_fma_f64 v[8:9], -v[19:20], v[8:9], v[23:24]
	ds_write_b128 v102, v[4:7]
	ds_write_b128 v12, v[8:11] offset:17408
	ds_read_b128 v[4:7], v101
	ds_read_b128 v[8:11], v12 offset:16320
	s_waitcnt lgkmcnt(0)
	v_add_f64 v[17:18], v[4:5], -v[8:9]
	v_add_f64 v[19:20], v[6:7], v[10:11]
	v_add_f64 v[6:7], v[6:7], -v[10:11]
	v_add_f64 v[4:5], v[4:5], v[8:9]
	v_mul_f64 v[17:18], v[17:18], 0.5
	v_mul_f64 v[19:20], v[19:20], 0.5
	v_mul_f64 v[6:7], v[6:7], 0.5
	s_waitcnt vmcnt(1)
	v_mul_f64 v[8:9], v[17:18], v[15:16]
	v_fma_f64 v[10:11], v[19:20], v[15:16], v[6:7]
	v_fma_f64 v[15:16], v[19:20], v[15:16], -v[6:7]
	v_fma_f64 v[21:22], v[4:5], 0.5, v[8:9]
	v_fma_f64 v[23:24], v[4:5], 0.5, -v[8:9]
	v_add_co_u32_e32 v4, vcc, s6, v83
	v_addc_co_u32_e32 v5, vcc, v25, v84, vcc
	global_load_dwordx4 v[4:7], v[4:5], off
	v_fma_f64 v[10:11], -v[13:14], v[17:18], v[10:11]
	v_fma_f64 v[8:9], v[19:20], v[13:14], v[21:22]
	v_fma_f64 v[15:16], -v[13:14], v[17:18], v[15:16]
	v_fma_f64 v[13:14], -v[19:20], v[13:14], v[23:24]
	ds_write_b128 v101, v[8:11]
	ds_write_b128 v12, v[13:16] offset:16320
	ds_read_b128 v[8:11], v100
	ds_read_b128 v[13:16], v12 offset:15232
	;; [unrolled: 25-line block ×5, first 2 shown]
	s_waitcnt lgkmcnt(0)
	v_add_f64 v[17:18], v[8:9], -v[13:14]
	v_add_f64 v[19:20], v[10:11], v[15:16]
	v_add_f64 v[10:11], v[10:11], -v[15:16]
	v_add_f64 v[8:9], v[8:9], v[13:14]
	v_mul_f64 v[15:16], v[17:18], 0.5
	v_mul_f64 v[17:18], v[19:20], 0.5
	;; [unrolled: 1-line block ×3, first 2 shown]
	s_waitcnt vmcnt(1)
	v_mul_f64 v[13:14], v[15:16], v[2:3]
	v_fma_f64 v[19:20], v[17:18], v[2:3], v[10:11]
	v_fma_f64 v[2:3], v[17:18], v[2:3], -v[10:11]
	v_fma_f64 v[21:22], v[8:9], 0.5, v[13:14]
	v_fma_f64 v[13:14], v[8:9], 0.5, -v[13:14]
	v_fma_f64 v[10:11], -v[0:1], v[15:16], v[19:20]
	v_fma_f64 v[2:3], -v[0:1], v[15:16], v[2:3]
	v_fma_f64 v[8:9], v[17:18], v[0:1], v[21:22]
	v_fma_f64 v[0:1], -v[17:18], v[0:1], v[13:14]
	ds_write_b128 v97, v[8:11]
	ds_write_b128 v12, v[0:3] offset:11968
	ds_read_b128 v[0:3], v96
	ds_read_b128 v[8:11], v12 offset:10880
	s_waitcnt lgkmcnt(0)
	v_add_f64 v[13:14], v[0:1], -v[8:9]
	v_add_f64 v[15:16], v[2:3], v[10:11]
	v_add_f64 v[2:3], v[2:3], -v[10:11]
	v_add_f64 v[0:1], v[0:1], v[8:9]
	v_mul_f64 v[10:11], v[13:14], 0.5
	v_mul_f64 v[13:14], v[15:16], 0.5
	;; [unrolled: 1-line block ×3, first 2 shown]
	s_waitcnt vmcnt(0)
	v_mul_f64 v[8:9], v[10:11], v[6:7]
	v_fma_f64 v[15:16], v[13:14], v[6:7], v[2:3]
	v_fma_f64 v[6:7], v[13:14], v[6:7], -v[2:3]
	v_fma_f64 v[17:18], v[0:1], 0.5, v[8:9]
	v_fma_f64 v[8:9], v[0:1], 0.5, -v[8:9]
	v_fma_f64 v[2:3], -v[4:5], v[10:11], v[15:16]
	v_fma_f64 v[6:7], -v[4:5], v[10:11], v[6:7]
	v_fma_f64 v[0:1], v[13:14], v[4:5], v[17:18]
	v_fma_f64 v[4:5], -v[13:14], v[4:5], v[8:9]
	ds_write_b128 v96, v[0:3]
	ds_write_b128 v12, v[4:7] offset:10880
	s_and_saveexec_b64 s[4:5], s[2:3]
	s_cbranch_execz .LBB0_26
; %bb.25:
	v_mov_b32_e32 v77, 0
	v_lshlrev_b64 v[0:1], 4, v[76:77]
	v_mov_b32_e32 v2, s7
	v_add_co_u32_e32 v0, vcc, s6, v0
	v_addc_co_u32_e32 v1, vcc, v2, v1, vcc
	global_load_dwordx4 v[0:3], v[0:1], off
	v_lshl_add_u32 v19, v76, 4, v133
	ds_read_b128 v[4:7], v19
	ds_read_b128 v[8:11], v12 offset:9792
	s_waitcnt lgkmcnt(0)
	v_add_f64 v[13:14], v[4:5], -v[8:9]
	v_add_f64 v[15:16], v[6:7], v[10:11]
	v_add_f64 v[6:7], v[6:7], -v[10:11]
	v_add_f64 v[4:5], v[4:5], v[8:9]
	v_mul_f64 v[10:11], v[13:14], 0.5
	v_mul_f64 v[13:14], v[15:16], 0.5
	;; [unrolled: 1-line block ×3, first 2 shown]
	s_waitcnt vmcnt(0)
	v_mul_f64 v[8:9], v[10:11], v[2:3]
	v_fma_f64 v[15:16], v[13:14], v[2:3], v[6:7]
	v_fma_f64 v[2:3], v[13:14], v[2:3], -v[6:7]
	v_fma_f64 v[6:7], v[4:5], 0.5, v[8:9]
	v_fma_f64 v[17:18], v[4:5], 0.5, -v[8:9]
	v_fma_f64 v[4:5], -v[0:1], v[10:11], v[15:16]
	v_fma_f64 v[8:9], -v[0:1], v[10:11], v[2:3]
	v_fma_f64 v[2:3], v[13:14], v[0:1], v[6:7]
	v_fma_f64 v[6:7], -v[13:14], v[0:1], v[17:18]
	ds_write_b128 v19, v[2:5]
	ds_write_b128 v12, v[6:9] offset:9792
.LBB0_26:
	s_or_b64 exec, exec, s[4:5]
	s_waitcnt lgkmcnt(0)
	s_barrier
	s_and_saveexec_b64 s[2:3], s[0:1]
	s_cbranch_execz .LBB0_29
; %bb.27:
	ds_read_b128 v[2:5], v132
	ds_read_b128 v[6:9], v132 offset:1088
	ds_read_b128 v[10:13], v132 offset:2176
	;; [unrolled: 1-line block ×3, first 2 shown]
	v_mov_b32_e32 v0, s13
	v_add_co_u32_e32 v1, vcc, s12, v74
	v_addc_co_u32_e32 v0, vcc, v0, v75, vcc
	v_add_co_u32_e32 v18, vcc, v1, v88
	v_addc_co_u32_e32 v19, vcc, v0, v89, vcc
	s_waitcnt lgkmcnt(3)
	global_store_dwordx4 v[18:19], v[2:5], off
	s_waitcnt lgkmcnt(2)
	global_store_dwordx4 v[18:19], v[6:9], off offset:1088
	s_waitcnt lgkmcnt(1)
	global_store_dwordx4 v[18:19], v[10:13], off offset:2176
	s_waitcnt lgkmcnt(0)
	global_store_dwordx4 v[18:19], v[14:17], off offset:3264
	ds_read_b128 v[2:5], v132 offset:4352
	ds_read_b128 v[6:9], v132 offset:5440
	ds_read_b128 v[10:13], v132 offset:6528
	ds_read_b128 v[14:17], v132 offset:7616
	s_movk_i32 s0, 0x1000
	v_add_co_u32_e32 v20, vcc, s0, v18
	v_addc_co_u32_e32 v21, vcc, 0, v19, vcc
	s_waitcnt lgkmcnt(3)
	global_store_dwordx4 v[20:21], v[2:5], off offset:256
	s_waitcnt lgkmcnt(2)
	global_store_dwordx4 v[20:21], v[6:9], off offset:1344
	s_waitcnt lgkmcnt(1)
	global_store_dwordx4 v[20:21], v[10:13], off offset:2432
	s_waitcnt lgkmcnt(0)
	global_store_dwordx4 v[20:21], v[14:17], off offset:3520
	ds_read_b128 v[2:5], v132 offset:8704
	ds_read_b128 v[6:9], v132 offset:9792
	ds_read_b128 v[10:13], v132 offset:10880
	ds_read_b128 v[14:17], v132 offset:11968
	s_movk_i32 s0, 0x2000
	v_add_co_u32_e32 v20, vcc, s0, v18
	v_addc_co_u32_e32 v21, vcc, 0, v19, vcc
	s_waitcnt lgkmcnt(3)
	global_store_dwordx4 v[20:21], v[2:5], off offset:512
	s_waitcnt lgkmcnt(2)
	global_store_dwordx4 v[20:21], v[6:9], off offset:1600
	s_waitcnt lgkmcnt(1)
	global_store_dwordx4 v[20:21], v[10:13], off offset:2688
	s_waitcnt lgkmcnt(0)
	global_store_dwordx4 v[20:21], v[14:17], off offset:3776
	ds_read_b128 v[2:5], v132 offset:13056
	ds_read_b128 v[6:9], v132 offset:14144
	ds_read_b128 v[10:13], v132 offset:15232
	ds_read_b128 v[14:17], v132 offset:16320
	s_movk_i32 s0, 0x3000
	v_add_co_u32_e32 v20, vcc, s0, v18
	v_addc_co_u32_e32 v21, vcc, 0, v19, vcc
	s_waitcnt lgkmcnt(3)
	global_store_dwordx4 v[20:21], v[2:5], off offset:768
	s_waitcnt lgkmcnt(2)
	global_store_dwordx4 v[20:21], v[6:9], off offset:1856
	s_waitcnt lgkmcnt(1)
	global_store_dwordx4 v[20:21], v[10:13], off offset:2944
	;; [unrolled: 2-line block ×3, first 2 shown]
	ds_read_b128 v[2:5], v132 offset:17408
	v_add_co_u32_e32 v6, vcc, 0x4000, v18
	v_addc_co_u32_e32 v7, vcc, 0, v19, vcc
	s_movk_i32 s0, 0x43
	v_cmp_eq_u32_e32 vcc, s0, v72
	s_waitcnt lgkmcnt(0)
	global_store_dwordx4 v[6:7], v[2:5], off offset:1024
	s_and_b64 exec, exec, vcc
	s_cbranch_execz .LBB0_29
; %bb.28:
	ds_read_b128 v[2:5], v132 offset:17424
	v_add_co_u32_e32 v6, vcc, 0x4000, v1
	v_addc_co_u32_e32 v7, vcc, 0, v0, vcc
	s_waitcnt lgkmcnt(0)
	global_store_dwordx4 v[6:7], v[2:5], off offset:2112
.LBB0_29:
	s_endpgm
	.section	.rodata,"a",@progbits
	.p2align	6, 0x0
	.amdhsa_kernel fft_rtc_fwd_len1156_factors_17_2_17_2_wgs_204_tpt_68_halfLds_dp_ip_CI_unitstride_sbrr_R2C_dirReg
		.amdhsa_group_segment_fixed_size 0
		.amdhsa_private_segment_fixed_size 0
		.amdhsa_kernarg_size 88
		.amdhsa_user_sgpr_count 6
		.amdhsa_user_sgpr_private_segment_buffer 1
		.amdhsa_user_sgpr_dispatch_ptr 0
		.amdhsa_user_sgpr_queue_ptr 0
		.amdhsa_user_sgpr_kernarg_segment_ptr 1
		.amdhsa_user_sgpr_dispatch_id 0
		.amdhsa_user_sgpr_flat_scratch_init 0
		.amdhsa_user_sgpr_private_segment_size 0
		.amdhsa_uses_dynamic_stack 0
		.amdhsa_system_sgpr_private_segment_wavefront_offset 0
		.amdhsa_system_sgpr_workgroup_id_x 1
		.amdhsa_system_sgpr_workgroup_id_y 0
		.amdhsa_system_sgpr_workgroup_id_z 0
		.amdhsa_system_sgpr_workgroup_info 0
		.amdhsa_system_vgpr_workitem_id 0
		.amdhsa_next_free_vgpr 193
		.amdhsa_next_free_sgpr 54
		.amdhsa_reserve_vcc 1
		.amdhsa_reserve_flat_scratch 0
		.amdhsa_float_round_mode_32 0
		.amdhsa_float_round_mode_16_64 0
		.amdhsa_float_denorm_mode_32 3
		.amdhsa_float_denorm_mode_16_64 3
		.amdhsa_dx10_clamp 1
		.amdhsa_ieee_mode 1
		.amdhsa_fp16_overflow 0
		.amdhsa_exception_fp_ieee_invalid_op 0
		.amdhsa_exception_fp_denorm_src 0
		.amdhsa_exception_fp_ieee_div_zero 0
		.amdhsa_exception_fp_ieee_overflow 0
		.amdhsa_exception_fp_ieee_underflow 0
		.amdhsa_exception_fp_ieee_inexact 0
		.amdhsa_exception_int_div_zero 0
	.end_amdhsa_kernel
	.text
.Lfunc_end0:
	.size	fft_rtc_fwd_len1156_factors_17_2_17_2_wgs_204_tpt_68_halfLds_dp_ip_CI_unitstride_sbrr_R2C_dirReg, .Lfunc_end0-fft_rtc_fwd_len1156_factors_17_2_17_2_wgs_204_tpt_68_halfLds_dp_ip_CI_unitstride_sbrr_R2C_dirReg
                                        ; -- End function
	.section	.AMDGPU.csdata,"",@progbits
; Kernel info:
; codeLenInByte = 20032
; NumSgprs: 58
; NumVgprs: 193
; ScratchSize: 0
; MemoryBound: 0
; FloatMode: 240
; IeeeMode: 1
; LDSByteSize: 0 bytes/workgroup (compile time only)
; SGPRBlocks: 7
; VGPRBlocks: 48
; NumSGPRsForWavesPerEU: 58
; NumVGPRsForWavesPerEU: 193
; Occupancy: 1
; WaveLimiterHint : 1
; COMPUTE_PGM_RSRC2:SCRATCH_EN: 0
; COMPUTE_PGM_RSRC2:USER_SGPR: 6
; COMPUTE_PGM_RSRC2:TRAP_HANDLER: 0
; COMPUTE_PGM_RSRC2:TGID_X_EN: 1
; COMPUTE_PGM_RSRC2:TGID_Y_EN: 0
; COMPUTE_PGM_RSRC2:TGID_Z_EN: 0
; COMPUTE_PGM_RSRC2:TIDIG_COMP_CNT: 0
	.type	__hip_cuid_69a9ecbf106d1cd2,@object ; @__hip_cuid_69a9ecbf106d1cd2
	.section	.bss,"aw",@nobits
	.globl	__hip_cuid_69a9ecbf106d1cd2
__hip_cuid_69a9ecbf106d1cd2:
	.byte	0                               ; 0x0
	.size	__hip_cuid_69a9ecbf106d1cd2, 1

	.ident	"AMD clang version 19.0.0git (https://github.com/RadeonOpenCompute/llvm-project roc-6.4.0 25133 c7fe45cf4b819c5991fe208aaa96edf142730f1d)"
	.section	".note.GNU-stack","",@progbits
	.addrsig
	.addrsig_sym __hip_cuid_69a9ecbf106d1cd2
	.amdgpu_metadata
---
amdhsa.kernels:
  - .args:
      - .actual_access:  read_only
        .address_space:  global
        .offset:         0
        .size:           8
        .value_kind:     global_buffer
      - .offset:         8
        .size:           8
        .value_kind:     by_value
      - .actual_access:  read_only
        .address_space:  global
        .offset:         16
        .size:           8
        .value_kind:     global_buffer
      - .actual_access:  read_only
        .address_space:  global
        .offset:         24
        .size:           8
        .value_kind:     global_buffer
      - .offset:         32
        .size:           8
        .value_kind:     by_value
      - .actual_access:  read_only
        .address_space:  global
        .offset:         40
        .size:           8
        .value_kind:     global_buffer
      - .actual_access:  read_only
        .address_space:  global
        .offset:         48
        .size:           8
        .value_kind:     global_buffer
      - .offset:         56
        .size:           4
        .value_kind:     by_value
      - .actual_access:  read_only
        .address_space:  global
        .offset:         64
        .size:           8
        .value_kind:     global_buffer
      - .actual_access:  read_only
        .address_space:  global
        .offset:         72
        .size:           8
        .value_kind:     global_buffer
      - .address_space:  global
        .offset:         80
        .size:           8
        .value_kind:     global_buffer
    .group_segment_fixed_size: 0
    .kernarg_segment_align: 8
    .kernarg_segment_size: 88
    .language:       OpenCL C
    .language_version:
      - 2
      - 0
    .max_flat_workgroup_size: 204
    .name:           fft_rtc_fwd_len1156_factors_17_2_17_2_wgs_204_tpt_68_halfLds_dp_ip_CI_unitstride_sbrr_R2C_dirReg
    .private_segment_fixed_size: 0
    .sgpr_count:     58
    .sgpr_spill_count: 0
    .symbol:         fft_rtc_fwd_len1156_factors_17_2_17_2_wgs_204_tpt_68_halfLds_dp_ip_CI_unitstride_sbrr_R2C_dirReg.kd
    .uniform_work_group_size: 1
    .uses_dynamic_stack: false
    .vgpr_count:     193
    .vgpr_spill_count: 0
    .wavefront_size: 64
amdhsa.target:   amdgcn-amd-amdhsa--gfx906
amdhsa.version:
  - 1
  - 2
...

	.end_amdgpu_metadata
